;; amdgpu-corpus repo=ROCm/rocFFT kind=compiled arch=gfx906 opt=O3
	.text
	.amdgcn_target "amdgcn-amd-amdhsa--gfx906"
	.amdhsa_code_object_version 6
	.protected	bluestein_single_back_len153_dim1_dp_op_CI_CI ; -- Begin function bluestein_single_back_len153_dim1_dp_op_CI_CI
	.globl	bluestein_single_back_len153_dim1_dp_op_CI_CI
	.p2align	8
	.type	bluestein_single_back_len153_dim1_dp_op_CI_CI,@function
bluestein_single_back_len153_dim1_dp_op_CI_CI: ; @bluestein_single_back_len153_dim1_dp_op_CI_CI
; %bb.0:
	s_mov_b64 s[62:63], s[2:3]
	v_mul_u32_u24_e32 v1, 0xf10, v0
	s_mov_b64 s[60:61], s[0:1]
	s_load_dwordx4 s[0:3], s[4:5], 0x28
	v_lshrrev_b32_e32 v1, 16, v1
	s_add_u32 s60, s60, s7
	v_mad_u64_u32 v[136:137], s[6:7], s6, 7, v[1:2]
	v_mov_b32_e32 v137, 0
	s_addc_u32 s61, s61, 0
	s_waitcnt lgkmcnt(0)
	v_cmp_gt_u64_e32 vcc, s[0:1], v[136:137]
	s_and_saveexec_b64 s[0:1], vcc
	s_cbranch_execz .LBB0_15
; %bb.1:
	s_mov_b32 s0, 0x24924925
	v_mul_hi_u32 v2, v136, s0
	s_load_dwordx2 s[6:7], s[4:5], 0x0
	s_load_dwordx2 s[12:13], s[4:5], 0x38
	v_mul_lo_u16_e32 v1, 17, v1
	v_sub_u16_e32 v1, v0, v1
	v_sub_u32_e32 v3, v136, v2
	v_lshrrev_b32_e32 v3, 1, v3
	v_add_u32_e32 v2, v3, v2
	v_lshrrev_b32_e32 v2, 2, v2
	v_mul_lo_u32 v2, v2, 7
	v_cmp_gt_u16_e32 vcc, 9, v1
	v_lshlrev_b32_e32 v255, 4, v1
	buffer_store_dword v1, off, s[60:63], 0 ; 4-byte Folded Spill
	v_sub_u32_e32 v0, v136, v2
	v_mul_u32_u24_e32 v0, 0x99, v0
	buffer_store_dword v0, off, s[60:63], 0 offset:4 ; 4-byte Folded Spill
	v_lshlrev_b32_e32 v0, 4, v0
	buffer_store_dword v0, off, s[60:63], 0 offset:8 ; 4-byte Folded Spill
	s_and_saveexec_b64 s[14:15], vcc
	s_cbranch_execz .LBB0_3
; %bb.2:
	buffer_load_dword v149, off, s[60:63], 0 ; 4-byte Folded Reload
	s_load_dwordx2 s[0:1], s[4:5], 0x18
	s_waitcnt vmcnt(0)
	v_or_b32_e32 v121, 0x90, v149
	s_waitcnt lgkmcnt(0)
	s_load_dwordx4 s[8:11], s[0:1], 0x0
	s_waitcnt lgkmcnt(0)
	v_mad_u64_u32 v[0:1], s[0:1], s10, v136, 0
	v_mad_u64_u32 v[2:3], s[0:1], s8, v149, 0
	v_mad_u64_u32 v[4:5], s[0:1], s11, v136, v[1:2]
	v_mad_u64_u32 v[5:6], s[0:1], s9, v149, v[3:4]
	v_mov_b32_e32 v1, v4
	v_lshlrev_b64 v[0:1], 4, v[0:1]
	v_mov_b32_e32 v3, v5
	v_mov_b32_e32 v6, s3
	v_lshlrev_b64 v[2:3], 4, v[2:3]
	v_add_co_u32_e64 v16, s[0:1], s2, v0
	v_addc_co_u32_e64 v17, s[0:1], v6, v1, s[0:1]
	v_add_co_u32_e64 v18, s[0:1], v16, v2
	v_addc_co_u32_e64 v19, s[0:1], v17, v3, s[0:1]
	s_mul_i32 s0, s9, 0x90
	s_mul_hi_u32 s3, s8, 0x90
	s_add_i32 s3, s3, s0
	s_mul_i32 s2, s8, 0x90
	v_mov_b32_e32 v0, s3
	v_add_co_u32_e64 v20, s[0:1], s2, v18
	v_addc_co_u32_e64 v21, s[0:1], v19, v0, s[0:1]
	global_load_dwordx4 v[0:3], v[18:19], off
	global_load_dwordx4 v[4:7], v[20:21], off
	global_load_dwordx4 v[8:11], v255, s[6:7]
	global_load_dwordx4 v[12:15], v255, s[6:7] offset:144
	v_mov_b32_e32 v18, s3
	v_add_co_u32_e64 v34, s[0:1], s2, v20
	v_addc_co_u32_e64 v35, s[0:1], v21, v18, s[0:1]
	v_add_co_u32_e64 v36, s[0:1], s2, v34
	v_addc_co_u32_e64 v37, s[0:1], v35, v18, s[0:1]
	global_load_dwordx4 v[18:21], v[34:35], off
	global_load_dwordx4 v[22:25], v[36:37], off
	global_load_dwordx4 v[26:29], v255, s[6:7] offset:288
	global_load_dwordx4 v[30:33], v255, s[6:7] offset:432
	v_mov_b32_e32 v34, s3
	v_add_co_u32_e64 v38, s[0:1], s2, v36
	v_addc_co_u32_e64 v39, s[0:1], v37, v34, s[0:1]
	v_mov_b32_e32 v40, s3
	v_add_co_u32_e64 v66, s[0:1], s2, v38
	v_addc_co_u32_e64 v67, s[0:1], v39, v40, s[0:1]
	;; [unrolled: 3-line block ×3, first 2 shown]
	global_load_dwordx4 v[34:37], v[38:39], off
	s_nop 0
	global_load_dwordx4 v[38:41], v255, s[6:7] offset:576
	global_load_dwordx4 v[42:45], v255, s[6:7] offset:720
	global_load_dwordx4 v[46:49], v[66:67], off
	global_load_dwordx4 v[50:53], v255, s[6:7] offset:864
	global_load_dwordx4 v[54:57], v255, s[6:7] offset:1008
	;; [unrolled: 1-line block ×4, first 2 shown]
	v_mov_b32_e32 v72, s3
	global_load_dwordx4 v[66:69], v[70:71], off
	v_add_co_u32_e64 v74, s[0:1], s2, v70
	v_addc_co_u32_e64 v75, s[0:1], v71, v72, s[0:1]
	v_mov_b32_e32 v76, s3
	v_add_co_u32_e64 v78, s[0:1], s2, v74
	v_addc_co_u32_e64 v79, s[0:1], v75, v76, s[0:1]
	v_mov_b32_e32 v80, s3
	;; [unrolled: 3-line block ×7, first 2 shown]
	v_add_co_u32_e64 v118, s[0:1], s2, v114
	v_addc_co_u32_e64 v119, s[0:1], v115, v116, s[0:1]
	v_mad_u64_u32 v[130:131], s[0:1], s8, v121, 0
	global_load_dwordx4 v[70:73], v[74:75], off
	v_mov_b32_e32 v120, s3
	global_load_dwordx4 v[74:77], v[78:79], off
	s_waitcnt vmcnt(15)
	v_mul_f64 v[134:135], v[6:7], v[14:15]
	global_load_dwordx4 v[78:81], v[82:83], off
	v_mul_f64 v[14:15], v[4:5], v[14:15]
	global_load_dwordx4 v[82:85], v[86:87], off
	s_nop 0
	global_load_dwordx4 v[86:89], v[98:99], off
	global_load_dwordx4 v[90:93], v255, s[6:7] offset:1440
	global_load_dwordx4 v[94:97], v255, s[6:7] offset:1584
	v_fma_f64 v[4:5], v[4:5], v[12:13], v[134:135]
	global_load_dwordx4 v[98:101], v[102:103], off
	s_nop 0
	global_load_dwordx4 v[102:105], v[114:115], off
	global_load_dwordx4 v[106:109], v255, s[6:7] offset:1728
	global_load_dwordx4 v[110:113], v255, s[6:7] offset:1872
	s_waitcnt vmcnt(21)
	v_mul_f64 v[141:142], v[20:21], v[28:29]
	global_load_dwordx4 v[114:117], v[118:119], off
	v_add_co_u32_e64 v118, s[0:1], s2, v118
	v_addc_co_u32_e64 v119, s[0:1], v119, v120, s[0:1]
	v_mov_b32_e32 v120, v131
	v_mad_u64_u32 v[131:132], s[0:1], s9, v121, v[120:121]
	global_load_dwordx4 v[118:121], v[118:119], off
	s_nop 0
	global_load_dwordx4 v[122:125], v255, s[6:7] offset:2016
	global_load_dwordx4 v[126:129], v255, s[6:7] offset:2160
	v_mul_f64 v[28:29], v[18:19], v[28:29]
	v_lshlrev_b64 v[130:131], 4, v[130:131]
	s_waitcnt vmcnt(24)
	v_mul_f64 v[143:144], v[24:25], v[32:33]
	v_add_co_u32_e64 v16, s[0:1], v16, v130
	v_addc_co_u32_e64 v17, s[0:1], v17, v131, s[0:1]
	global_load_dwordx4 v[130:133], v[16:17], off
	global_load_dwordx4 v[137:140], v255, s[6:7] offset:2304
	v_mul_f64 v[16:17], v[2:3], v[10:11]
	v_mul_f64 v[10:11], v[0:1], v[10:11]
	;; [unrolled: 1-line block ×3, first 2 shown]
	v_fma_f64 v[6:7], v[6:7], v[12:13], -v[14:15]
	s_waitcnt vmcnt(24)
	v_mul_f64 v[145:146], v[36:37], v[40:41]
	v_mul_f64 v[40:41], v[34:35], v[40:41]
	s_waitcnt vmcnt(22)
	v_mul_f64 v[147:148], v[48:49], v[44:45]
	v_mul_f64 v[44:45], v[46:47], v[44:45]
	v_fma_f64 v[0:1], v[0:1], v[8:9], v[16:17]
	v_fma_f64 v[2:3], v[2:3], v[8:9], -v[10:11]
	v_fma_f64 v[8:9], v[18:19], v[26:27], v[141:142]
	v_fma_f64 v[10:11], v[20:21], v[26:27], -v[28:29]
	s_waitcnt vmcnt(17)
	v_mul_f64 v[26:27], v[68:69], v[52:53]
	v_mul_f64 v[28:29], v[66:67], v[52:53]
	v_fma_f64 v[14:15], v[24:25], v[30:31], -v[32:33]
	v_fma_f64 v[12:13], v[22:23], v[30:31], v[143:144]
	v_fma_f64 v[16:17], v[34:35], v[38:39], v[145:146]
	v_fma_f64 v[18:19], v[36:37], v[38:39], -v[40:41]
	v_fma_f64 v[20:21], v[46:47], v[42:43], v[147:148]
	v_fma_f64 v[22:23], v[48:49], v[42:43], -v[44:45]
	;; [unrolled: 2-line block ×3, first 2 shown]
	buffer_load_dword v29, off, s[60:63], 0 offset:8 ; 4-byte Folded Reload
	s_waitcnt vmcnt(17)
	v_mul_f64 v[30:31], v[72:73], v[56:57]
	v_mul_f64 v[32:33], v[70:71], v[56:57]
	s_waitcnt vmcnt(16)
	v_mul_f64 v[34:35], v[76:77], v[60:61]
	v_mul_f64 v[36:37], v[74:75], v[60:61]
	s_waitcnt vmcnt(0)
	v_lshl_add_u32 v28, v149, 4, v29
	ds_write_b128 v28, v[0:3]
	v_fma_f64 v[0:1], v[70:71], v[54:55], v[30:31]
	v_fma_f64 v[2:3], v[72:73], v[54:55], -v[32:33]
	v_add_u32_e32 v38, v29, v255
	v_fma_f64 v[28:29], v[74:75], v[58:59], v[34:35]
	v_fma_f64 v[30:31], v[76:77], v[58:59], -v[36:37]
	ds_write_b128 v38, v[4:7] offset:144
	ds_write_b128 v38, v[8:11] offset:288
	ds_write_b128 v38, v[12:15] offset:432
	ds_write_b128 v38, v[16:19] offset:576
	ds_write_b128 v38, v[20:23] offset:720
	ds_write_b128 v38, v[24:27] offset:864
	ds_write_b128 v38, v[0:3] offset:1008
	ds_write_b128 v38, v[28:31] offset:1152
	v_mul_f64 v[0:1], v[80:81], v[64:65]
	v_mul_f64 v[2:3], v[78:79], v[64:65]
	;; [unrolled: 1-line block ×16, first 2 shown]
	v_fma_f64 v[0:1], v[78:79], v[62:63], v[0:1]
	v_fma_f64 v[2:3], v[80:81], v[62:63], -v[2:3]
	v_fma_f64 v[4:5], v[82:83], v[90:91], v[4:5]
	v_fma_f64 v[6:7], v[84:85], v[90:91], -v[6:7]
	;; [unrolled: 2-line block ×8, first 2 shown]
	ds_write_b128 v38, v[0:3] offset:1296
	ds_write_b128 v38, v[4:7] offset:1440
	;; [unrolled: 1-line block ×8, first 2 shown]
.LBB0_3:
	s_or_b64 exec, exec, s[14:15]
	s_load_dwordx2 s[0:1], s[4:5], 0x20
	s_load_dwordx2 s[8:9], s[4:5], 0x8
	s_waitcnt vmcnt(0) lgkmcnt(0)
	s_barrier
	s_waitcnt lgkmcnt(0)
                                        ; implicit-def: $vgpr34_vgpr35
                                        ; implicit-def: $vgpr84_vgpr85
                                        ; implicit-def: $vgpr88_vgpr89
                                        ; implicit-def: $vgpr92_vgpr93
                                        ; implicit-def: $vgpr96_vgpr97
                                        ; implicit-def: $vgpr80_vgpr81
                                        ; implicit-def: $vgpr44_vgpr45
                                        ; implicit-def: $vgpr36_vgpr37
                                        ; implicit-def: $vgpr40_vgpr41
                                        ; implicit-def: $vgpr48_vgpr49
                                        ; implicit-def: $vgpr52_vgpr53
                                        ; implicit-def: $vgpr56_vgpr57
                                        ; implicit-def: $vgpr60_vgpr61
                                        ; implicit-def: $vgpr64_vgpr65
                                        ; implicit-def: $vgpr68_vgpr69
                                        ; implicit-def: $vgpr72_vgpr73
                                        ; implicit-def: $vgpr76_vgpr77
	s_and_saveexec_b64 s[2:3], vcc
	s_cbranch_execz .LBB0_5
; %bb.4:
	buffer_load_dword v0, off, s[60:63], 0 offset:4 ; 4-byte Folded Reload
	s_waitcnt vmcnt(0)
	v_lshl_add_u32 v0, v0, 4, v255
	ds_read_b128 v[32:35], v0
	ds_read_b128 v[84:87], v0 offset:144
	ds_read_b128 v[88:91], v0 offset:288
	;; [unrolled: 1-line block ×16, first 2 shown]
.LBB0_5:
	s_or_b64 exec, exec, s[2:3]
	s_waitcnt lgkmcnt(0)
	v_add_f64 v[30:31], v[86:87], -v[78:79]
	s_mov_b32 s24, 0x5d8e7cdc
	s_mov_b32 s25, 0xbfd71e95
	v_add_f64 v[28:29], v[84:85], -v[76:77]
	v_add_f64 v[112:113], v[90:91], -v[74:75]
	s_mov_b32 s26, 0x2a9d6da3
	s_mov_b32 s27, 0xbfe58eea
	v_add_f64 v[106:107], v[88:89], -v[72:73]
	v_mul_f64 v[0:1], v[30:31], s[24:25]
	v_add_f64 v[143:144], v[94:95], -v[70:71]
	s_mov_b32 s30, 0x7c9e640b
	v_mul_f64 v[2:3], v[28:29], s[24:25]
	v_mul_f64 v[4:5], v[112:113], s[26:27]
	s_mov_b32 s31, 0xbfeca52d
	v_add_f64 v[108:109], v[84:85], v[76:77]
	v_mul_f64 v[6:7], v[106:107], s[26:27]
	buffer_store_dword v0, off, s[60:63], 0 offset:64 ; 4-byte Folded Spill
	s_nop 0
	buffer_store_dword v1, off, s[60:63], 0 offset:68 ; 4-byte Folded Spill
	buffer_store_dword v2, off, s[60:63], 0 offset:80 ; 4-byte Folded Spill
	s_nop 0
	buffer_store_dword v3, off, s[60:63], 0 offset:84 ; 4-byte Folded Spill
	;; [unrolled: 3-line block ×3, first 2 shown]
	v_mul_f64 v[8:9], v[143:144], s[30:31]
	buffer_store_dword v6, off, s[60:63], 0 offset:104 ; 4-byte Folded Spill
	s_nop 0
	buffer_store_dword v7, off, s[60:63], 0 offset:108 ; 4-byte Folded Spill
	buffer_store_dword v8, off, s[60:63], 0 offset:112 ; 4-byte Folded Spill
	s_nop 0
	buffer_store_dword v9, off, s[60:63], 0 offset:116 ; 4-byte Folded Spill
	s_mov_b32 s2, 0x370991
	s_mov_b32 s3, 0x3fedd6d0
	v_add_f64 v[118:119], v[88:89], v[72:73]
	v_add_f64 v[155:156], v[92:93], -v[68:69]
	s_mov_b32 s4, 0x75d4884
	s_mov_b32 s5, 0x3fe7a5f6
	v_add_f64 v[124:125], v[92:93], v[68:69]
	v_add_f64 v[169:170], v[98:99], -v[66:67]
	s_mov_b32 s10, 0x2b2883cd
	s_mov_b32 s28, 0xeb564b22
	;; [unrolled: 1-line block ×3, first 2 shown]
	v_mul_f64 v[10:11], v[155:156], s[30:31]
	s_mov_b32 s29, 0xbfefdd0d
	buffer_store_dword v10, off, s[60:63], 0 offset:120 ; 4-byte Folded Spill
	s_nop 0
	buffer_store_dword v11, off, s[60:63], 0 offset:124 ; 4-byte Folded Spill
	v_add_f64 v[110:111], v[86:87], v[78:79]
	v_add_f64 v[120:121], v[90:91], v[74:75]
	;; [unrolled: 1-line block ×3, first 2 shown]
	v_add_f64 v[187:188], v[96:97], -v[64:65]
	v_add_f64 v[134:135], v[96:97], v[64:65]
	v_add_f64 v[205:206], v[82:83], -v[62:63]
	s_mov_b32 s14, 0x3259b75e
	s_mov_b32 s34, 0x923c349f
	s_mov_b32 s15, 0x3fb79ee6
	s_mov_b32 s35, 0xbfeec746
	v_add_f64 v[139:140], v[98:99], v[66:67]
	v_add_f64 v[217:218], v[80:81], -v[60:61]
	v_add_f64 v[145:146], v[80:81], v[60:61]
	v_add_f64 v[251:252], v[46:47], -v[58:59]
	s_mov_b32 s16, 0xc61f0d01
	s_mov_b32 s36, 0x6c9a05f6
	s_mov_b32 s17, 0xbfd183b1
	s_mov_b32 s37, 0xbfe9895b
	v_add_f64 v[147:148], v[82:83], v[62:63]
	;; [unrolled: 8-line block ×3, first 2 shown]
	v_add_f64 v[116:117], v[36:37], -v[52:53]
	v_add_f64 v[159:160], v[36:37], v[52:53]
	s_mov_b32 s18, 0x910ea3b9
	s_mov_b32 s19, 0xbfeb34fa
	v_mul_f64 v[12:13], v[28:29], s[26:27]
	v_add_f64 v[161:162], v[38:39], v[54:55]
	v_mul_f64 v[18:19], v[143:144], s[36:37]
	v_mul_f64 v[20:21], v[155:156], s[36:37]
	v_add_f64 v[122:123], v[42:43], -v[50:51]
	s_mov_b32 s40, 0xacd6c6b4
	s_mov_b32 s41, 0xbfc7851a
	v_add_f64 v[173:174], v[40:41], v[48:49]
	v_add_f64 v[175:176], v[42:43], v[50:51]
	s_mov_b32 s22, 0x7faef3
	s_mov_b32 s23, 0xbfef7484
	;; [unrolled: 1-line block ×3, first 2 shown]
	v_mul_f64 v[14:15], v[122:123], s[40:41]
	s_mov_b32 s48, s38
	v_fma_f64 v[0:1], v[108:109], s[2:3], v[0:1]
	v_mul_f64 v[22:23], v[30:31], s[30:31]
	v_mul_f64 v[24:25], v[28:29], s[30:31]
	v_fma_f64 v[2:3], v[110:111], s[2:3], -v[2:3]
	v_fma_f64 v[4:5], v[118:119], s[4:5], v[4:5]
	s_mov_b32 s51, 0x3feec746
	s_mov_b32 s50, s34
	v_fma_f64 v[6:7], v[120:121], s[4:5], -v[6:7]
	v_add_f64 v[0:1], v[32:33], v[0:1]
	s_mov_b32 s43, 0x3fc7851a
	s_mov_b32 s42, s40
	v_add_f64 v[2:3], v[34:35], v[2:3]
	s_mov_b32 s45, 0x3fe58eea
	s_mov_b32 s44, s26
	;; [unrolled: 1-line block ×4, first 2 shown]
	v_add_f64 v[0:1], v[4:5], v[0:1]
	v_fma_f64 v[4:5], v[124:125], s[10:11], v[8:9]
	v_mul_f64 v[8:9], v[169:170], s[28:29]
	v_add_f64 v[2:3], v[6:7], v[2:3]
	s_mov_b32 s53, 0x3fe9895b
	s_mov_b32 s52, s36
	v_mul_f64 v[153:154], v[28:29], s[34:35]
	v_mul_f64 v[157:158], v[106:107], s[48:49]
	buffer_store_dword v8, off, s[60:63], 0 offset:128 ; 4-byte Folded Spill
	s_nop 0
	buffer_store_dword v9, off, s[60:63], 0 offset:132 ; 4-byte Folded Spill
	v_add_f64 v[0:1], v[4:5], v[0:1]
	v_mul_f64 v[128:129], v[143:144], s[44:45]
	v_mul_f64 v[165:166], v[155:156], s[44:45]
	;; [unrolled: 1-line block ×5, first 2 shown]
	v_fma_f64 v[6:7], v[126:127], s[10:11], -v[10:11]
	v_mul_f64 v[10:11], v[187:188], s[28:29]
	buffer_store_dword v10, off, s[60:63], 0 offset:136 ; 4-byte Folded Spill
	s_nop 0
	buffer_store_dword v11, off, s[60:63], 0 offset:140 ; 4-byte Folded Spill
	v_add_f64 v[2:3], v[6:7], v[2:3]
	v_mul_f64 v[137:138], v[114:115], s[24:25]
	v_mul_f64 v[177:178], v[116:117], s[24:25]
	;; [unrolled: 1-line block ×31, first 2 shown]
	v_fma_f64 v[4:5], v[134:135], s[14:15], v[8:9]
	v_mul_f64 v[8:9], v[205:206], s[34:35]
	buffer_store_dword v8, off, s[60:63], 0 offset:144 ; 4-byte Folded Spill
	s_nop 0
	buffer_store_dword v9, off, s[60:63], 0 offset:148 ; 4-byte Folded Spill
	v_add_f64 v[0:1], v[4:5], v[0:1]
	v_fma_f64 v[6:7], v[139:140], s[14:15], -v[10:11]
	v_mul_f64 v[10:11], v[217:218], s[34:35]
	buffer_store_dword v10, off, s[60:63], 0 offset:152 ; 4-byte Folded Spill
	s_nop 0
	buffer_store_dword v11, off, s[60:63], 0 offset:156 ; 4-byte Folded Spill
	v_add_f64 v[2:3], v[6:7], v[2:3]
	v_fma_f64 v[4:5], v[145:146], s[16:17], v[8:9]
	v_mul_f64 v[8:9], v[251:252], s[36:37]
	buffer_store_dword v8, off, s[60:63], 0 offset:160 ; 4-byte Folded Spill
	s_nop 0
	buffer_store_dword v9, off, s[60:63], 0 offset:164 ; 4-byte Folded Spill
	v_add_f64 v[0:1], v[4:5], v[0:1]
	v_fma_f64 v[6:7], v[147:148], s[16:17], -v[10:11]
	v_mul_f64 v[10:11], v[253:254], s[36:37]
	buffer_store_dword v10, off, s[60:63], 0 offset:168 ; 4-byte Folded Spill
	s_nop 0
	buffer_store_dword v11, off, s[60:63], 0 offset:172 ; 4-byte Folded Spill
	v_add_f64 v[2:3], v[6:7], v[2:3]
	;; [unrolled: 12-line block ×3, first 2 shown]
	v_fma_f64 v[4:5], v[159:160], s[18:19], v[8:9]
	v_mul_f64 v[8:9], v[30:31], s[26:27]
	buffer_store_dword v8, off, s[60:63], 0 offset:208 ; 4-byte Folded Spill
	s_nop 0
	buffer_store_dword v9, off, s[60:63], 0 offset:212 ; 4-byte Folded Spill
	buffer_store_dword v12, off, s[60:63], 0 offset:304 ; 4-byte Folded Spill
	s_nop 0
	buffer_store_dword v13, off, s[60:63], 0 offset:308 ; 4-byte Folded Spill
	v_add_f64 v[0:1], v[4:5], v[0:1]
	v_fma_f64 v[6:7], v[161:162], s[18:19], -v[10:11]
	v_mul_f64 v[10:11], v[112:113], s[28:29]
	buffer_store_dword v10, off, s[60:63], 0 offset:216 ; 4-byte Folded Spill
	s_nop 0
	buffer_store_dword v11, off, s[60:63], 0 offset:220 ; 4-byte Folded Spill
	v_add_f64 v[2:3], v[6:7], v[2:3]
	v_fma_f64 v[4:5], v[108:109], s[4:5], v[8:9]
	v_fma_f64 v[6:7], v[110:111], s[4:5], -v[12:13]
	v_mul_f64 v[12:13], v[106:107], s[28:29]
	buffer_store_dword v12, off, s[60:63], 0 offset:296 ; 4-byte Folded Spill
	s_nop 0
	buffer_store_dword v13, off, s[60:63], 0 offset:300 ; 4-byte Folded Spill
	buffer_store_dword v18, off, s[60:63], 0 offset:224 ; 4-byte Folded Spill
	s_nop 0
	buffer_store_dword v19, off, s[60:63], 0 offset:228 ; 4-byte Folded Spill
	;; [unrolled: 3-line block ×3, first 2 shown]
	v_add_f64 v[8:9], v[40:41], -v[48:49]
	v_add_f64 v[4:5], v[32:33], v[4:5]
	v_add_f64 v[6:7], v[34:35], v[6:7]
	v_fma_f64 v[10:11], v[118:119], s[14:15], v[10:11]
	buffer_store_dword v14, off, s[60:63], 0 offset:192 ; 4-byte Folded Spill
	s_nop 0
	buffer_store_dword v15, off, s[60:63], 0 offset:196 ; 4-byte Folded Spill
	v_mul_f64 v[16:17], v[8:9], s[40:41]
	buffer_store_dword v16, off, s[60:63], 0 offset:200 ; 4-byte Folded Spill
	s_nop 0
	buffer_store_dword v17, off, s[60:63], 0 offset:204 ; 4-byte Folded Spill
	v_add_f64 v[4:5], v[10:11], v[4:5]
	v_mul_f64 v[179:180], v[8:9], s[36:37]
	v_mul_f64 v[249:250], v[8:9], s[34:35]
	v_fma_f64 v[12:13], v[120:121], s[14:15], -v[12:13]
	v_fma_f64 v[10:11], v[124:125], s[20:21], v[18:19]
	v_mul_f64 v[18:19], v[169:170], s[40:41]
	buffer_store_dword v18, off, s[60:63], 0 offset:232 ; 4-byte Folded Spill
	s_nop 0
	buffer_store_dword v19, off, s[60:63], 0 offset:236 ; 4-byte Folded Spill
	v_add_f64 v[6:7], v[12:13], v[6:7]
	v_fma_f64 v[12:13], v[126:127], s[20:21], -v[20:21]
	v_mul_f64 v[20:21], v[187:188], s[40:41]
	buffer_store_dword v20, off, s[60:63], 0 offset:280 ; 4-byte Folded Spill
	s_nop 0
	buffer_store_dword v21, off, s[60:63], 0 offset:284 ; 4-byte Folded Spill
	v_fma_f64 v[14:15], v[173:174], s[22:23], v[14:15]
	v_fma_f64 v[16:17], v[175:176], s[22:23], -v[16:17]
	v_add_f64 v[4:5], v[10:11], v[4:5]
	v_add_f64 v[6:7], v[12:13], v[6:7]
	;; [unrolled: 1-line block ×4, first 2 shown]
	buffer_store_dword v0, off, s[60:63], 0 offset:12 ; 4-byte Folded Spill
	s_nop 0
	buffer_store_dword v1, off, s[60:63], 0 offset:16 ; 4-byte Folded Spill
	buffer_store_dword v2, off, s[60:63], 0 offset:20 ; 4-byte Folded Spill
	buffer_store_dword v3, off, s[60:63], 0 offset:24 ; 4-byte Folded Spill
	v_mul_f64 v[14:15], v[112:113], s[36:37]
	v_mul_f64 v[16:17], v[106:107], s[36:37]
	v_fma_f64 v[10:11], v[134:135], s[22:23], v[18:19]
	v_mul_f64 v[18:19], v[205:206], s[48:49]
	buffer_store_dword v18, off, s[60:63], 0 offset:240 ; 4-byte Folded Spill
	s_nop 0
	buffer_store_dword v19, off, s[60:63], 0 offset:244 ; 4-byte Folded Spill
	v_add_f64 v[0:1], v[10:11], v[4:5]
	v_fma_f64 v[12:13], v[139:140], s[22:23], -v[20:21]
	v_mul_f64 v[20:21], v[217:218], s[48:49]
	buffer_store_dword v20, off, s[60:63], 0 offset:272 ; 4-byte Folded Spill
	s_nop 0
	buffer_store_dword v21, off, s[60:63], 0 offset:276 ; 4-byte Folded Spill
	buffer_store_dword v22, off, s[60:63], 0 offset:368 ; 4-byte Folded Spill
	s_nop 0
	buffer_store_dword v23, off, s[60:63], 0 offset:372 ; 4-byte Folded Spill
	buffer_store_dword v24, off, s[60:63], 0 offset:408 ; 4-byte Folded Spill
	s_nop 0
	buffer_store_dword v25, off, s[60:63], 0 offset:412 ; 4-byte Folded Spill
	v_add_f64 v[2:3], v[12:13], v[6:7]
	buffer_store_dword v14, off, s[60:63], 0 offset:376 ; 4-byte Folded Spill
	s_nop 0
	buffer_store_dword v15, off, s[60:63], 0 offset:380 ; 4-byte Folded Spill
	buffer_store_dword v16, off, s[60:63], 0 offset:416 ; 4-byte Folded Spill
	s_nop 0
	buffer_store_dword v17, off, s[60:63], 0 offset:420 ; 4-byte Folded Spill
	v_fma_f64 v[4:5], v[145:146], s[18:19], v[18:19]
	v_mul_f64 v[18:19], v[251:252], s[50:51]
	buffer_store_dword v18, off, s[60:63], 0 offset:248 ; 4-byte Folded Spill
	s_nop 0
	buffer_store_dword v19, off, s[60:63], 0 offset:252 ; 4-byte Folded Spill
	v_add_f64 v[0:1], v[4:5], v[0:1]
	v_fma_f64 v[6:7], v[147:148], s[18:19], -v[20:21]
	v_fma_f64 v[10:11], v[108:109], s[10:11], v[22:23]
	v_fma_f64 v[12:13], v[110:111], s[10:11], -v[24:25]
	v_mul_f64 v[20:21], v[253:254], s[50:51]
	v_mul_f64 v[22:23], v[143:144], s[42:43]
	;; [unrolled: 1-line block ×3, first 2 shown]
	buffer_store_dword v20, off, s[60:63], 0 offset:320 ; 4-byte Folded Spill
	s_nop 0
	buffer_store_dword v21, off, s[60:63], 0 offset:324 ; 4-byte Folded Spill
	buffer_store_dword v22, off, s[60:63], 0 offset:384 ; 4-byte Folded Spill
	s_nop 0
	buffer_store_dword v23, off, s[60:63], 0 offset:388 ; 4-byte Folded Spill
	;; [unrolled: 3-line block ×3, first 2 shown]
	v_add_f64 v[10:11], v[32:33], v[10:11]
	v_fma_f64 v[14:15], v[118:119], s[20:21], v[14:15]
	v_add_f64 v[12:13], v[34:35], v[12:13]
	v_fma_f64 v[16:17], v[120:121], s[20:21], -v[16:17]
	s_mov_b32 s43, 0x3feca52d
	s_mov_b32 s42, s30
	v_add_f64 v[2:3], v[6:7], v[2:3]
	v_mul_f64 v[197:198], v[122:123], s[42:43]
	v_mul_f64 v[215:216], v[8:9], s[42:43]
	v_add_f64 v[10:11], v[14:15], v[10:11]
	v_mul_f64 v[221:222], v[112:113], s[42:43]
	v_add_f64 v[12:13], v[16:17], v[12:13]
	v_mul_f64 v[237:238], v[106:107], s[42:43]
	v_fma_f64 v[4:5], v[149:150], s[16:17], v[18:19]
	v_mul_f64 v[18:19], v[114:115], s[42:43]
	v_add_f64 v[0:1], v[4:5], v[0:1]
	v_fma_f64 v[6:7], v[151:152], s[16:17], -v[20:21]
	v_fma_f64 v[14:15], v[124:125], s[22:23], v[22:23]
	v_fma_f64 v[16:17], v[126:127], s[22:23], -v[24:25]
	v_mul_f64 v[22:23], v[169:170], s[50:51]
	v_mul_f64 v[24:25], v[187:188], s[50:51]
	buffer_store_dword v22, off, s[60:63], 0 offset:392 ; 4-byte Folded Spill
	s_nop 0
	buffer_store_dword v23, off, s[60:63], 0 offset:396 ; 4-byte Folded Spill
	buffer_store_dword v24, off, s[60:63], 0 offset:432 ; 4-byte Folded Spill
	s_nop 0
	buffer_store_dword v25, off, s[60:63], 0 offset:436 ; 4-byte Folded Spill
	v_mul_f64 v[20:21], v[116:117], s[42:43]
	v_add_f64 v[10:11], v[14:15], v[10:11]
	v_add_f64 v[12:13], v[16:17], v[12:13]
	buffer_store_dword v18, off, s[60:63], 0 offset:256 ; 4-byte Folded Spill
	s_nop 0
	buffer_store_dword v19, off, s[60:63], 0 offset:260 ; 4-byte Folded Spill
	buffer_store_dword v20, off, s[60:63], 0 offset:312 ; 4-byte Folded Spill
	s_nop 0
	buffer_store_dword v21, off, s[60:63], 0 offset:316 ; 4-byte Folded Spill
	v_add_f64 v[2:3], v[6:7], v[2:3]
	v_fma_f64 v[14:15], v[134:135], s[16:17], v[22:23]
	v_fma_f64 v[16:17], v[139:140], s[16:17], -v[24:25]
	v_mul_f64 v[22:23], v[205:206], s[44:45]
	v_mul_f64 v[24:25], v[217:218], s[44:45]
	buffer_store_dword v22, off, s[60:63], 0 offset:400 ; 4-byte Folded Spill
	s_nop 0
	buffer_store_dword v23, off, s[60:63], 0 offset:404 ; 4-byte Folded Spill
	buffer_store_dword v24, off, s[60:63], 0 offset:440 ; 4-byte Folded Spill
	s_nop 0
	buffer_store_dword v25, off, s[60:63], 0 offset:444 ; 4-byte Folded Spill
	v_fma_f64 v[4:5], v[159:160], s[10:11], v[18:19]
	v_fma_f64 v[6:7], v[161:162], s[10:11], -v[20:21]
	v_add_f64 v[10:11], v[14:15], v[10:11]
	v_add_f64 v[12:13], v[16:17], v[12:13]
	v_mul_f64 v[18:19], v[122:123], s[46:47]
	v_mul_f64 v[20:21], v[8:9], s[46:47]
	v_add_f64 v[0:1], v[4:5], v[0:1]
	v_add_f64 v[2:3], v[6:7], v[2:3]
	v_fma_f64 v[14:15], v[145:146], s[4:5], v[22:23]
	v_fma_f64 v[16:17], v[147:148], s[4:5], -v[24:25]
	v_mul_f64 v[22:23], v[251:252], s[24:25]
	v_mul_f64 v[24:25], v[253:254], s[24:25]
	buffer_store_dword v22, off, s[60:63], 0 offset:336 ; 4-byte Folded Spill
	s_nop 0
	buffer_store_dword v23, off, s[60:63], 0 offset:340 ; 4-byte Folded Spill
	buffer_store_dword v24, off, s[60:63], 0 offset:456 ; 4-byte Folded Spill
	s_nop 0
	buffer_store_dword v25, off, s[60:63], 0 offset:460 ; 4-byte Folded Spill
	;; [unrolled: 3-line block ×4, first 2 shown]
	v_add_f64 v[10:11], v[14:15], v[10:11]
	v_add_f64 v[12:13], v[16:17], v[12:13]
	v_fma_f64 v[14:15], v[149:150], s[2:3], v[22:23]
	v_fma_f64 v[16:17], v[151:152], s[2:3], -v[24:25]
	v_mul_f64 v[22:23], v[114:115], s[28:29]
	v_mul_f64 v[24:25], v[116:117], s[28:29]
	v_fma_f64 v[4:5], v[173:174], s[2:3], v[18:19]
	v_fma_f64 v[6:7], v[175:176], s[2:3], -v[20:21]
	buffer_store_dword v22, off, s[60:63], 0 offset:344 ; 4-byte Folded Spill
	s_nop 0
	buffer_store_dword v23, off, s[60:63], 0 offset:348 ; 4-byte Folded Spill
	buffer_store_dword v24, off, s[60:63], 0 offset:448 ; 4-byte Folded Spill
	s_nop 0
	buffer_store_dword v25, off, s[60:63], 0 offset:452 ; 4-byte Folded Spill
	v_mul_f64 v[18:19], v[122:123], s[38:39]
	v_add_f64 v[0:1], v[4:5], v[0:1]
	v_add_f64 v[2:3], v[6:7], v[2:3]
	buffer_store_dword v0, off, s[60:63], 0 offset:28 ; 4-byte Folded Spill
	s_nop 0
	buffer_store_dword v1, off, s[60:63], 0 offset:32 ; 4-byte Folded Spill
	buffer_store_dword v2, off, s[60:63], 0 offset:36 ; 4-byte Folded Spill
	;; [unrolled: 1-line block ×4, first 2 shown]
	s_nop 0
	buffer_store_dword v19, off, s[60:63], 0 offset:356 ; 4-byte Folded Spill
	v_add_f64 v[10:11], v[14:15], v[10:11]
	v_add_f64 v[12:13], v[16:17], v[12:13]
	v_mul_f64 v[20:21], v[8:9], s[38:39]
	buffer_store_dword v20, off, s[60:63], 0 offset:360 ; 4-byte Folded Spill
	s_nop 0
	buffer_store_dword v21, off, s[60:63], 0 offset:364 ; 4-byte Folded Spill
	v_fma_f64 v[14:15], v[159:160], s[14:15], v[22:23]
	v_fma_f64 v[16:17], v[161:162], s[14:15], -v[24:25]
	v_mul_f64 v[22:23], v[30:31], s[28:29]
	buffer_store_dword v22, off, s[60:63], 0 offset:472 ; 4-byte Folded Spill
	s_nop 0
	buffer_store_dword v23, off, s[60:63], 0 offset:476 ; 4-byte Folded Spill
	v_add_f64 v[0:1], v[14:15], v[10:11]
	v_add_f64 v[2:3], v[16:17], v[12:13]
	v_fma_f64 v[4:5], v[173:174], s[18:19], v[18:19]
	v_mul_f64 v[16:17], v[112:113], s[40:41]
	buffer_store_dword v16, off, s[60:63], 0 offset:480 ; 4-byte Folded Spill
	s_nop 0
	buffer_store_dword v17, off, s[60:63], 0 offset:484 ; 4-byte Folded Spill
	v_add_f64 v[12:13], v[4:5], v[0:1]
	v_mul_f64 v[4:5], v[28:29], s[28:29]
	buffer_store_dword v4, off, s[60:63], 0 offset:520 ; 4-byte Folded Spill
	s_nop 0
	buffer_store_dword v5, off, s[60:63], 0 offset:524 ; 4-byte Folded Spill
	v_fma_f64 v[6:7], v[175:176], s[18:19], -v[20:21]
	v_fma_f64 v[20:21], v[120:121], s[16:17], -v[201:202]
	;; [unrolled: 1-line block ×4, first 2 shown]
	v_add_f64 v[14:15], v[6:7], v[2:3]
	v_fma_f64 v[10:11], v[108:109], s[14:15], v[22:23]
	v_add_f64 v[0:1], v[32:33], v[10:11]
	v_fma_f64 v[2:3], v[118:119], s[22:23], v[16:17]
	v_add_f64 v[0:1], v[2:3], v[0:1]
	v_fma_f64 v[2:3], v[110:111], s[14:15], -v[4:5]
	v_mul_f64 v[4:5], v[106:107], s[40:41]
	buffer_store_dword v4, off, s[60:63], 0 offset:528 ; 4-byte Folded Spill
	s_nop 0
	buffer_store_dword v5, off, s[60:63], 0 offset:532 ; 4-byte Folded Spill
	v_add_f64 v[2:3], v[34:35], v[2:3]
	v_mul_f64 v[106:107], v[169:170], s[44:45]
	v_fma_f64 v[10:11], v[120:121], s[22:23], -v[4:5]
	v_mul_f64 v[4:5], v[143:144], s[50:51]
	buffer_store_dword v4, off, s[60:63], 0 offset:504 ; 4-byte Folded Spill
	s_nop 0
	buffer_store_dword v5, off, s[60:63], 0 offset:508 ; 4-byte Folded Spill
	v_add_f64 v[2:3], v[10:11], v[2:3]
	v_mul_f64 v[143:144], v[143:144], s[38:39]
	v_fma_f64 v[10:11], v[124:125], s[16:17], v[4:5]
	v_mul_f64 v[4:5], v[155:156], s[50:51]
	buffer_store_dword v4, off, s[60:63], 0 offset:552 ; 4-byte Folded Spill
	s_nop 0
	buffer_store_dword v5, off, s[60:63], 0 offset:556 ; 4-byte Folded Spill
	v_add_f64 v[0:1], v[10:11], v[0:1]
	v_fma_f64 v[10:11], v[126:127], s[16:17], -v[4:5]
	v_mul_f64 v[4:5], v[169:170], s[46:47]
	buffer_store_dword v4, off, s[60:63], 0 offset:496 ; 4-byte Folded Spill
	s_nop 0
	buffer_store_dword v5, off, s[60:63], 0 offset:500 ; 4-byte Folded Spill
	v_add_f64 v[2:3], v[10:11], v[2:3]
	v_fma_f64 v[10:11], v[134:135], s[2:3], v[4:5]
	v_mul_f64 v[4:5], v[187:188], s[46:47]
	buffer_store_dword v4, off, s[60:63], 0 offset:544 ; 4-byte Folded Spill
	s_nop 0
	buffer_store_dword v5, off, s[60:63], 0 offset:548 ; 4-byte Folded Spill
	v_add_f64 v[0:1], v[10:11], v[0:1]
	v_fma_f64 v[10:11], v[139:140], s[2:3], -v[4:5]
	v_mul_f64 v[4:5], v[205:206], s[30:31]
	buffer_store_dword v4, off, s[60:63], 0 offset:512 ; 4-byte Folded Spill
	s_nop 0
	buffer_store_dword v5, off, s[60:63], 0 offset:516 ; 4-byte Folded Spill
	v_add_f64 v[2:3], v[10:11], v[2:3]
	;; [unrolled: 12-line block ×5, first 2 shown]
	v_fma_f64 v[10:11], v[173:174], s[4:5], v[4:5]
	v_add_f64 v[4:5], v[10:11], v[0:1]
	v_mul_f64 v[0:1], v[8:9], s[44:45]
	buffer_store_dword v0, off, s[60:63], 0 offset:584 ; 4-byte Folded Spill
	s_nop 0
	buffer_store_dword v1, off, s[60:63], 0 offset:588 ; 4-byte Folded Spill
	v_fma_f64 v[10:11], v[120:121], s[18:19], -v[157:158]
	v_fma_f64 v[0:1], v[175:176], s[4:5], -v[0:1]
	v_add_f64 v[6:7], v[0:1], v[2:3]
	buffer_store_dword v4, off, s[60:63], 0 offset:44 ; 4-byte Folded Spill
	s_nop 0
	buffer_store_dword v5, off, s[60:63], 0 offset:48 ; 4-byte Folded Spill
	buffer_store_dword v6, off, s[60:63], 0 offset:52 ; 4-byte Folded Spill
	;; [unrolled: 1-line block ×3, first 2 shown]
	v_mul_f64 v[4:5], v[30:31], s[34:35]
	v_mul_f64 v[2:3], v[112:113], s[48:49]
	;; [unrolled: 1-line block ×3, first 2 shown]
	s_waitcnt vmcnt(0)
	s_barrier
	v_fma_f64 v[0:1], v[108:109], s[16:17], v[4:5]
	v_mov_b32_e32 v7, v3
	v_mov_b32_e32 v6, v2
	v_fma_f64 v[2:3], v[118:119], s[18:19], v[2:3]
	v_add_f64 v[0:1], v[32:33], v[0:1]
	v_add_f64 v[0:1], v[2:3], v[0:1]
	v_fma_f64 v[2:3], v[110:111], s[16:17], -v[153:154]
	v_add_f64 v[2:3], v[34:35], v[2:3]
	v_add_f64 v[2:3], v[10:11], v[2:3]
	v_fma_f64 v[10:11], v[124:125], s[4:5], v[128:129]
	v_add_f64 v[0:1], v[10:11], v[0:1]
	v_fma_f64 v[10:11], v[126:127], s[4:5], -v[165:166]
	v_add_f64 v[2:3], v[10:11], v[2:3]
	v_mul_f64 v[10:11], v[169:170], s[30:31]
	s_mov_b32 s31, 0x3fefdd0d
	s_mov_b32 s30, s28
	v_mul_f64 v[132:133], v[251:252], s[30:31]
	v_mul_f64 v[171:172], v[253:254], s[30:31]
	;; [unrolled: 1-line block ×5, first 2 shown]
	v_fma_f64 v[16:17], v[134:135], s[10:11], v[10:11]
	v_add_f64 v[0:1], v[16:17], v[0:1]
	v_fma_f64 v[16:17], v[139:140], s[10:11], -v[163:164]
	v_add_f64 v[2:3], v[16:17], v[2:3]
	v_fma_f64 v[16:17], v[145:146], s[22:23], v[130:131]
	v_add_f64 v[0:1], v[16:17], v[0:1]
	v_fma_f64 v[16:17], v[147:148], s[22:23], -v[167:168]
	v_add_f64 v[2:3], v[16:17], v[2:3]
	;; [unrolled: 4-line block ×5, first 2 shown]
	v_fma_f64 v[0:1], v[108:109], s[20:21], v[181:182]
	v_fma_f64 v[2:3], v[118:119], s[16:17], v[183:184]
	v_add_f64 v[0:1], v[32:33], v[0:1]
	v_add_f64 v[0:1], v[2:3], v[0:1]
	v_fma_f64 v[2:3], v[110:111], s[20:21], -v[199:200]
	v_add_f64 v[2:3], v[34:35], v[2:3]
	v_add_f64 v[2:3], v[20:21], v[2:3]
	v_fma_f64 v[20:21], v[124:125], s[2:3], v[189:190]
	v_add_f64 v[0:1], v[20:21], v[0:1]
	v_fma_f64 v[20:21], v[126:127], s[2:3], -v[207:208]
	v_add_f64 v[2:3], v[20:21], v[2:3]
	v_fma_f64 v[20:21], v[134:135], s[18:19], v[185:186]
	v_add_f64 v[0:1], v[20:21], v[0:1]
	v_fma_f64 v[20:21], v[139:140], s[18:19], -v[203:204]
	;; [unrolled: 4-line block ×6, first 2 shown]
	v_add_f64 v[22:23], v[0:1], v[2:3]
	v_fma_f64 v[0:1], v[108:109], s[18:19], v[219:220]
	v_fma_f64 v[2:3], v[118:119], s[10:11], v[221:222]
	v_add_f64 v[0:1], v[32:33], v[0:1]
	v_add_f64 v[0:1], v[2:3], v[0:1]
	v_fma_f64 v[2:3], v[110:111], s[18:19], -v[235:236]
	v_add_f64 v[2:3], v[34:35], v[2:3]
	v_add_f64 v[2:3], v[24:25], v[2:3]
	v_fma_f64 v[24:25], v[124:125], s[14:15], v[225:226]
	v_add_f64 v[0:1], v[24:25], v[0:1]
	v_fma_f64 v[24:25], v[126:127], s[14:15], -v[241:242]
	v_add_f64 v[2:3], v[24:25], v[2:3]
	v_fma_f64 v[24:25], v[134:135], s[20:21], v[223:224]
	v_add_f64 v[0:1], v[24:25], v[0:1]
	v_fma_f64 v[24:25], v[139:140], s[20:21], -v[239:240]
	;; [unrolled: 4-line block ×6, first 2 shown]
	v_add_f64 v[26:27], v[0:1], v[2:3]
	v_fma_f64 v[0:1], v[108:109], s[22:23], v[100:101]
	v_fma_f64 v[2:3], v[118:119], s[2:3], v[112:113]
	v_add_f64 v[0:1], v[32:33], v[0:1]
	v_add_f64 v[0:1], v[2:3], v[0:1]
	v_fma_f64 v[2:3], v[110:111], s[22:23], -v[104:105]
	v_add_f64 v[2:3], v[34:35], v[2:3]
	v_add_f64 v[2:3], v[28:29], v[2:3]
	v_fma_f64 v[28:29], v[124:125], s[18:19], v[143:144]
	v_add_f64 v[28:29], v[28:29], v[0:1]
	v_mul_f64 v[0:1], v[155:156], s[38:39]
	v_fma_f64 v[30:31], v[126:127], s[18:19], -v[0:1]
	v_add_f64 v[30:31], v[30:31], v[2:3]
	v_fma_f64 v[2:3], v[134:135], s[4:5], v[106:107]
	v_add_f64 v[28:29], v[2:3], v[28:29]
	v_mul_f64 v[2:3], v[187:188], s[44:45]
	v_fma_f64 v[155:156], v[139:140], s[4:5], -v[2:3]
	v_add_f64 v[30:31], v[155:156], v[30:31]
	v_mul_f64 v[155:156], v[205:206], s[36:37]
	v_mul_f64 v[205:206], v[122:123], s[30:31]
	v_fma_f64 v[169:170], v[145:146], s[20:21], v[155:156]
	v_add_f64 v[28:29], v[169:170], v[28:29]
	v_fma_f64 v[169:170], v[147:148], s[20:21], -v[217:218]
	v_add_f64 v[30:31], v[169:170], v[30:31]
	v_mul_f64 v[169:170], v[251:252], s[42:43]
	v_mul_f64 v[251:252], v[253:254], s[42:43]
	;; [unrolled: 1-line block ×3, first 2 shown]
	v_fma_f64 v[187:188], v[149:150], s[10:11], v[169:170]
	v_add_f64 v[28:29], v[187:188], v[28:29]
	v_fma_f64 v[187:188], v[151:152], s[10:11], -v[251:252]
	v_add_f64 v[30:31], v[187:188], v[30:31]
	v_mul_f64 v[187:188], v[114:115], s[34:35]
	v_fma_f64 v[114:115], v[159:160], s[16:17], v[187:188]
	v_add_f64 v[28:29], v[114:115], v[28:29]
	v_fma_f64 v[114:115], v[161:162], s[16:17], -v[253:254]
	v_add_f64 v[30:31], v[114:115], v[30:31]
	v_mul_f64 v[114:115], v[8:9], s[30:31]
	v_fma_f64 v[8:9], v[173:174], s[14:15], v[205:206]
	v_add_f64 v[28:29], v[8:9], v[28:29]
	v_fma_f64 v[8:9], v[175:176], s[14:15], -v[114:115]
	v_add_f64 v[30:31], v[8:9], v[30:31]
	buffer_load_dword v8, off, s[60:63], 0  ; 4-byte Folded Reload
	s_waitcnt vmcnt(0)
	v_mul_lo_u16_e32 v8, 17, v8
	buffer_store_dword v8, off, s[60:63], 0 offset:60 ; 4-byte Folded Spill
	s_and_saveexec_b64 s[24:25], vcc
	s_cbranch_execz .LBB0_7
; %bb.6:
	v_add_f64 v[8:9], v[34:35], v[86:87]
	v_add_f64 v[84:85], v[32:33], v[84:85]
	v_mul_f64 v[86:87], v[161:162], s[16:17]
	v_mul_f64 v[116:117], v[110:111], s[10:11]
	;; [unrolled: 1-line block ×3, first 2 shown]
	v_add_f64 v[8:9], v[8:9], v[90:91]
	v_add_f64 v[84:85], v[84:85], v[88:89]
	v_mul_f64 v[90:91], v[151:152], s[10:11]
	v_add_f64 v[86:87], v[253:254], v[86:87]
	v_add_f64 v[8:9], v[8:9], v[94:95]
	v_mul_f64 v[94:95], v[139:140], s[4:5]
	v_add_f64 v[84:85], v[84:85], v[92:93]
	v_mul_f64 v[92:93], v[147:148], s[20:21]
	v_add_f64 v[90:91], v[251:252], v[90:91]
	v_add_f64 v[8:9], v[8:9], v[98:99]
	;; [unrolled: 1-line block ×3, first 2 shown]
	v_mul_f64 v[94:95], v[126:127], s[18:19]
	v_add_f64 v[88:89], v[84:85], v[96:97]
	v_mul_f64 v[96:97], v[120:121], s[2:3]
	v_mul_f64 v[98:99], v[108:109], s[22:23]
	v_add_f64 v[92:93], v[217:218], v[92:93]
	v_mul_f64 v[84:85], v[175:176], s[14:15]
	v_add_f64 v[8:9], v[8:9], v[82:83]
	v_add_f64 v[0:1], v[0:1], v[94:95]
	v_mul_f64 v[94:95], v[110:111], s[22:23]
	v_add_f64 v[96:97], v[102:103], v[96:97]
	v_add_f64 v[98:99], v[98:99], -v[100:101]
	v_mul_f64 v[100:101], v[118:119], s[2:3]
	v_add_f64 v[84:85], v[114:115], v[84:85]
	v_add_f64 v[82:83], v[88:89], v[80:81]
	v_mul_f64 v[88:89], v[110:111], s[20:21]
	v_mul_f64 v[80:81], v[126:127], s[2:3]
	v_add_f64 v[94:95], v[104:105], v[94:95]
	v_mul_f64 v[102:103], v[118:119], s[18:19]
	v_mul_f64 v[104:105], v[120:121], s[22:23]
	v_add_f64 v[100:101], v[100:101], -v[112:113]
	v_mul_f64 v[112:113], v[108:109], s[14:15]
	v_mul_f64 v[114:115], v[118:119], s[22:23]
	v_add_f64 v[88:89], v[199:200], v[88:89]
	v_add_f64 v[80:81], v[207:208], v[80:81]
	v_add_f64 v[94:95], v[34:35], v[94:95]
	v_add_f64 v[102:103], v[102:103], -v[6:7]
	v_add_f64 v[8:9], v[8:9], v[46:47]
	v_add_f64 v[44:45], v[82:83], v[44:45]
	;; [unrolled: 1-line block ×4, first 2 shown]
	v_mul_f64 v[96:97], v[124:125], s[18:19]
	v_add_f64 v[8:9], v[8:9], v[38:39]
	v_add_f64 v[36:37], v[44:45], v[36:37]
	;; [unrolled: 1-line block ×4, first 2 shown]
	v_add_f64 v[96:97], v[96:97], -v[143:144]
	v_mul_f64 v[98:99], v[134:135], s[4:5]
	v_mul_f64 v[143:144], v[120:121], s[4:5]
	v_add_f64 v[36:37], v[36:37], v[40:41]
	v_add_f64 v[8:9], v[8:9], v[42:43]
	;; [unrolled: 1-line block ×4, first 2 shown]
	v_mul_f64 v[100:101], v[108:109], s[16:17]
	v_add_f64 v[98:99], v[98:99], -v[106:107]
	v_mul_f64 v[106:107], v[124:125], s[16:17]
	v_add_f64 v[36:37], v[36:37], v[48:49]
	v_add_f64 v[8:9], v[8:9], v[50:51]
	;; [unrolled: 1-line block ×4, first 2 shown]
	v_mul_f64 v[96:97], v[145:146], s[20:21]
	v_mul_f64 v[92:93], v[159:160], s[16:17]
	v_add_f64 v[100:101], v[100:101], -v[4:5]
	buffer_load_dword v4, off, s[60:63], 0 offset:552 ; 4-byte Folded Reload
	buffer_load_dword v5, off, s[60:63], 0 offset:556 ; 4-byte Folded Reload
	v_add_f64 v[36:37], v[36:37], v[52:53]
	v_add_f64 v[8:9], v[8:9], v[54:55]
	;; [unrolled: 1-line block ×4, first 2 shown]
	v_add_f64 v[96:97], v[96:97], -v[155:156]
	v_mul_f64 v[94:95], v[149:150], s[10:11]
	v_add_f64 v[92:93], v[92:93], -v[187:188]
	v_mul_f64 v[90:91], v[173:174], s[14:15]
	v_add_f64 v[100:101], v[32:33], v[100:101]
	v_mul_f64 v[155:156], v[126:127], s[10:11]
	v_add_f64 v[0:1], v[86:87], v[0:1]
	v_add_f64 v[8:9], v[8:9], v[58:59]
	;; [unrolled: 1-line block ×3, first 2 shown]
	v_add_f64 v[94:95], v[94:95], -v[169:170]
	v_mul_f64 v[169:170], v[147:148], s[16:17]
	v_add_f64 v[90:91], v[90:91], -v[205:206]
	v_add_f64 v[100:101], v[102:103], v[100:101]
	v_mul_f64 v[102:103], v[134:135], s[10:11]
	v_add_f64 v[36:37], v[36:37], v[56:57]
	v_add_f64 v[8:9], v[8:9], v[62:63]
	;; [unrolled: 1-line block ×3, first 2 shown]
	v_mul_f64 v[94:95], v[118:119], s[10:11]
	v_add_f64 v[10:11], v[102:103], -v[10:11]
	v_add_f64 v[36:37], v[36:37], v[60:61]
	v_add_f64 v[8:9], v[8:9], v[66:67]
	;; [unrolled: 1-line block ×4, first 2 shown]
	v_mul_f64 v[84:85], v[126:127], s[14:15]
	v_mul_f64 v[92:93], v[108:109], s[18:19]
	v_add_f64 v[94:95], v[94:95], -v[221:222]
	v_add_f64 v[36:37], v[36:37], v[64:65]
	v_add_f64 v[8:9], v[8:9], v[70:71]
	;; [unrolled: 1-line block ×3, first 2 shown]
	v_mul_f64 v[86:87], v[110:111], s[18:19]
	v_mul_f64 v[90:91], v[120:121], s[10:11]
	v_add_f64 v[84:85], v[241:242], v[84:85]
	v_add_f64 v[92:93], v[92:93], -v[219:220]
	v_add_f64 v[36:37], v[36:37], v[68:69]
	v_add_f64 v[8:9], v[8:9], v[74:75]
	;; [unrolled: 1-line block ×8, first 2 shown]
	v_mul_f64 v[94:95], v[134:135], s[20:21]
	v_add_f64 v[86:87], v[90:91], v[86:87]
	v_mul_f64 v[90:91], v[139:140], s[20:21]
	v_add_f64 v[94:95], v[94:95], -v[223:224]
	v_add_f64 v[84:85], v[84:85], v[86:87]
	v_add_f64 v[90:91], v[239:240], v[90:91]
	v_mul_f64 v[86:87], v[147:148], s[2:3]
	v_add_f64 v[84:85], v[90:91], v[84:85]
	v_add_f64 v[86:87], v[243:244], v[86:87]
	v_mul_f64 v[90:91], v[151:152], s[22:23]
	v_add_f64 v[84:85], v[86:87], v[84:85]
	v_add_f64 v[90:91], v[245:246], v[90:91]
	v_mul_f64 v[86:87], v[161:162], s[4:5]
	v_add_f64 v[84:85], v[90:91], v[84:85]
	v_add_f64 v[86:87], v[247:248], v[86:87]
	v_mul_f64 v[90:91], v[175:176], s[16:17]
	v_add_f64 v[84:85], v[86:87], v[84:85]
	v_mul_f64 v[86:87], v[124:125], s[14:15]
	v_add_f64 v[90:91], v[249:250], v[90:91]
	v_add_f64 v[86:87], v[86:87], -v[225:226]
	v_add_f64 v[86:87], v[86:87], v[92:93]
	v_mul_f64 v[92:93], v[145:146], s[2:3]
	v_add_f64 v[86:87], v[94:95], v[86:87]
	v_add_f64 v[92:93], v[92:93], -v[227:228]
	v_mul_f64 v[94:95], v[149:150], s[22:23]
	v_add_f64 v[86:87], v[92:93], v[86:87]
	v_add_f64 v[94:95], v[94:95], -v[229:230]
	;; [unrolled: 3-line block ×3, first 2 shown]
	v_mul_f64 v[94:95], v[173:174], s[16:17]
	v_add_f64 v[92:93], v[92:93], v[86:87]
	v_add_f64 v[86:87], v[90:91], v[84:85]
	v_mul_f64 v[90:91], v[120:121], s[16:17]
	v_add_f64 v[94:95], v[94:95], -v[233:234]
	v_add_f64 v[90:91], v[201:202], v[90:91]
	v_add_f64 v[84:85], v[94:95], v[92:93]
	v_mul_f64 v[92:93], v[108:109], s[20:21]
	v_mul_f64 v[94:95], v[118:119], s[16:17]
	v_add_f64 v[88:89], v[90:91], v[88:89]
	v_mul_f64 v[90:91], v[139:140], s[18:19]
	v_add_f64 v[92:93], v[92:93], -v[181:182]
	v_add_f64 v[94:95], v[94:95], -v[183:184]
	v_mul_f64 v[181:182], v[175:176], s[2:3]
	v_add_f64 v[80:81], v[80:81], v[88:89]
	v_add_f64 v[90:91], v[203:204], v[90:91]
	v_mul_f64 v[88:89], v[147:148], s[14:15]
	v_add_f64 v[92:93], v[32:33], v[92:93]
	v_add_f64 v[80:81], v[90:91], v[80:81]
	;; [unrolled: 1-line block ×3, first 2 shown]
	v_mul_f64 v[90:91], v[151:152], s[4:5]
	v_add_f64 v[92:93], v[94:95], v[92:93]
	v_mul_f64 v[94:95], v[134:135], s[18:19]
	v_add_f64 v[80:81], v[88:89], v[80:81]
	v_add_f64 v[90:91], v[211:212], v[90:91]
	v_mul_f64 v[88:89], v[161:162], s[22:23]
	v_add_f64 v[94:95], v[94:95], -v[185:186]
	v_add_f64 v[80:81], v[90:91], v[80:81]
	v_add_f64 v[88:89], v[213:214], v[88:89]
	v_mul_f64 v[90:91], v[175:176], s[10:11]
	v_add_f64 v[80:81], v[88:89], v[80:81]
	v_mul_f64 v[88:89], v[124:125], s[2:3]
	v_add_f64 v[90:91], v[215:216], v[90:91]
	v_add_f64 v[88:89], v[88:89], -v[189:190]
	v_add_f64 v[80:81], v[90:91], v[80:81]
	v_add_f64 v[88:89], v[88:89], v[92:93]
	v_mul_f64 v[92:93], v[145:146], s[14:15]
	v_add_f64 v[88:89], v[94:95], v[88:89]
	v_add_f64 v[92:93], v[92:93], -v[191:192]
	v_mul_f64 v[94:95], v[149:150], s[4:5]
	v_add_f64 v[88:89], v[92:93], v[88:89]
	v_add_f64 v[94:95], v[94:95], -v[193:194]
	;; [unrolled: 3-line block ×3, first 2 shown]
	v_mul_f64 v[94:95], v[173:174], s[10:11]
	v_add_f64 v[98:99], v[92:93], v[88:89]
	v_mul_f64 v[92:93], v[110:111], s[16:17]
	v_add_f64 v[96:97], v[94:95], -v[197:198]
	v_mul_f64 v[94:95], v[120:121], s[18:19]
	v_mul_f64 v[88:89], v[126:127], s[4:5]
	;; [unrolled: 1-line block ×3, first 2 shown]
	v_add_f64 v[92:93], v[153:154], v[92:93]
	v_mul_f64 v[153:154], v[124:125], s[10:11]
	v_add_f64 v[94:95], v[157:158], v[94:95]
	v_add_f64 v[88:89], v[165:166], v[88:89]
	v_mul_f64 v[157:158], v[124:125], s[20:21]
	v_mul_f64 v[165:166], v[139:140], s[14:15]
	v_add_f64 v[92:93], v[34:35], v[92:93]
	v_add_f64 v[92:93], v[94:95], v[92:93]
	v_mul_f64 v[94:95], v[139:140], s[10:11]
	v_add_f64 v[88:89], v[88:89], v[92:93]
	v_add_f64 v[94:95], v[163:164], v[94:95]
	v_mul_f64 v[92:93], v[147:148], s[22:23]
	v_mul_f64 v[163:164], v[134:135], s[14:15]
	v_add_f64 v[88:89], v[94:95], v[88:89]
	v_add_f64 v[92:93], v[167:168], v[92:93]
	v_mul_f64 v[94:95], v[151:152], s[14:15]
	;; [unrolled: 4-line block ×4, first 2 shown]
	v_mul_f64 v[177:178], v[161:162], s[18:19]
	v_add_f64 v[88:89], v[92:93], v[88:89]
	v_mul_f64 v[92:93], v[124:125], s[4:5]
	v_mul_f64 v[124:125], v[124:125], s[22:23]
	v_add_f64 v[94:95], v[179:180], v[94:95]
	v_mul_f64 v[179:180], v[175:176], s[22:23]
	v_add_f64 v[92:93], v[92:93], -v[128:129]
	v_mul_f64 v[128:129], v[159:160], s[20:21]
	v_add_f64 v[90:91], v[94:95], v[88:89]
	v_add_f64 v[92:93], v[92:93], v[100:101]
	v_mul_f64 v[100:101], v[145:146], s[22:23]
	v_add_f64 v[10:11], v[10:11], v[92:93]
	v_add_f64 v[100:101], v[100:101], -v[130:131]
	v_mul_f64 v[92:93], v[149:150], s[14:15]
	v_mul_f64 v[130:131], v[151:152], s[2:3]
	v_add_f64 v[10:11], v[100:101], v[10:11]
	v_add_f64 v[92:93], v[92:93], -v[132:133]
	v_mul_f64 v[100:101], v[159:160], s[2:3]
	v_mul_f64 v[132:133], v[110:111], s[2:3]
	v_add_f64 v[10:11], v[92:93], v[10:11]
	v_mul_f64 v[92:93], v[173:174], s[20:21]
	v_add_f64 v[100:101], v[100:101], -v[137:138]
	v_mul_f64 v[137:138], v[161:162], s[14:15]
	v_add_f64 v[102:103], v[92:93], -v[141:142]
	v_mul_f64 v[92:93], v[126:127], s[16:17]
	v_add_f64 v[10:11], v[100:101], v[10:11]
	v_mul_f64 v[100:101], v[110:111], s[14:15]
	v_mul_f64 v[141:142], v[145:146], s[4:5]
	;; [unrolled: 1-line block ×3, first 2 shown]
	s_waitcnt vmcnt(0)
	v_add_f64 v[92:93], v[4:5], v[92:93]
	buffer_load_dword v4, off, s[60:63], 0 offset:520 ; 4-byte Folded Reload
	buffer_load_dword v5, off, s[60:63], 0 offset:524 ; 4-byte Folded Reload
	s_waitcnt vmcnt(0)
	v_add_f64 v[100:101], v[4:5], v[100:101]
	buffer_load_dword v4, off, s[60:63], 0 offset:528 ; 4-byte Folded Reload
	buffer_load_dword v5, off, s[60:63], 0 offset:532 ; 4-byte Folded Reload
	v_add_f64 v[100:101], v[34:35], v[100:101]
	s_waitcnt vmcnt(0)
	v_add_f64 v[104:105], v[4:5], v[104:105]
	buffer_load_dword v4, off, s[60:63], 0 offset:544 ; 4-byte Folded Reload
	buffer_load_dword v5, off, s[60:63], 0 offset:548 ; 4-byte Folded Reload
	v_add_f64 v[100:101], v[104:105], v[100:101]
	v_mul_f64 v[104:105], v[139:140], s[2:3]
	v_add_f64 v[92:93], v[92:93], v[100:101]
	v_mul_f64 v[100:101], v[147:148], s[10:11]
	s_waitcnt vmcnt(0)
	v_add_f64 v[104:105], v[4:5], v[104:105]
	buffer_load_dword v4, off, s[60:63], 0 offset:560 ; 4-byte Folded Reload
	buffer_load_dword v5, off, s[60:63], 0 offset:564 ; 4-byte Folded Reload
	v_add_f64 v[92:93], v[104:105], v[92:93]
	v_mul_f64 v[104:105], v[151:152], s[18:19]
	v_mul_f64 v[151:152], v[151:152], s[16:17]
	s_waitcnt vmcnt(0)
	v_add_f64 v[100:101], v[4:5], v[100:101]
	buffer_load_dword v4, off, s[60:63], 0 offset:568 ; 4-byte Folded Reload
	buffer_load_dword v5, off, s[60:63], 0 offset:572 ; 4-byte Folded Reload
	v_add_f64 v[92:93], v[100:101], v[92:93]
	v_mul_f64 v[100:101], v[161:162], s[20:21]
	;; [unrolled: 7-line block ×4, first 2 shown]
	s_waitcnt vmcnt(0)
	v_add_f64 v[104:105], v[4:5], v[104:105]
	buffer_load_dword v4, off, s[60:63], 0 offset:536 ; 4-byte Folded Reload
	buffer_load_dword v5, off, s[60:63], 0 offset:540 ; 4-byte Folded Reload
	v_add_f64 v[94:95], v[104:105], v[92:93]
	s_waitcnt vmcnt(0)
	v_add_f64 v[100:101], v[100:101], -v[4:5]
	buffer_load_dword v4, off, s[60:63], 0 offset:504 ; 4-byte Folded Reload
	buffer_load_dword v5, off, s[60:63], 0 offset:508 ; 4-byte Folded Reload
	s_waitcnt vmcnt(0)
	v_add_f64 v[106:107], v[106:107], -v[4:5]
	buffer_load_dword v4, off, s[60:63], 0 offset:472 ; 4-byte Folded Reload
	buffer_load_dword v5, off, s[60:63], 0 offset:476 ; 4-byte Folded Reload
	;; [unrolled: 4-line block ×3, first 2 shown]
	v_add_f64 v[112:113], v[32:33], v[112:113]
	s_waitcnt vmcnt(0)
	v_add_f64 v[114:115], v[114:115], -v[4:5]
	buffer_load_dword v4, off, s[60:63], 0 offset:496 ; 4-byte Folded Reload
	buffer_load_dword v5, off, s[60:63], 0 offset:500 ; 4-byte Folded Reload
	v_add_f64 v[112:113], v[114:115], v[112:113]
	v_mul_f64 v[114:115], v[134:135], s[2:3]
	v_add_f64 v[106:107], v[106:107], v[112:113]
	v_mul_f64 v[112:113], v[145:146], s[10:11]
	v_mul_f64 v[145:146], v[145:146], s[18:19]
	s_waitcnt vmcnt(0)
	v_add_f64 v[114:115], v[114:115], -v[4:5]
	buffer_load_dword v4, off, s[60:63], 0 offset:512 ; 4-byte Folded Reload
	buffer_load_dword v5, off, s[60:63], 0 offset:516 ; 4-byte Folded Reload
	v_add_f64 v[106:107], v[114:115], v[106:107]
	v_mul_f64 v[114:115], v[126:127], s[22:23]
	v_mul_f64 v[126:127], v[126:127], s[20:21]
	s_waitcnt vmcnt(0)
	v_add_f64 v[112:113], v[112:113], -v[4:5]
	buffer_load_dword v4, off, s[60:63], 0 offset:424 ; 4-byte Folded Reload
	buffer_load_dword v5, off, s[60:63], 0 offset:428 ; 4-byte Folded Reload
	v_add_f64 v[106:107], v[112:113], v[106:107]
	v_mul_f64 v[112:113], v[108:109], s[2:3]
	v_add_f64 v[100:101], v[100:101], v[106:107]
	v_mul_f64 v[106:107], v[108:109], s[4:5]
	v_mul_f64 v[108:109], v[108:109], s[10:11]
	s_waitcnt vmcnt(0)
	v_add_f64 v[114:115], v[4:5], v[114:115]
	buffer_load_dword v4, off, s[60:63], 0 offset:408 ; 4-byte Folded Reload
	buffer_load_dword v5, off, s[60:63], 0 offset:412 ; 4-byte Folded Reload
	s_waitcnt vmcnt(0)
	v_add_f64 v[116:117], v[4:5], v[116:117]
	buffer_load_dword v4, off, s[60:63], 0 offset:416 ; 4-byte Folded Reload
	buffer_load_dword v5, off, s[60:63], 0 offset:420 ; 4-byte Folded Reload
	v_add_f64 v[116:117], v[34:35], v[116:117]
	s_waitcnt vmcnt(0)
	v_add_f64 v[122:123], v[4:5], v[122:123]
	buffer_load_dword v4, off, s[60:63], 0 offset:432 ; 4-byte Folded Reload
	buffer_load_dword v5, off, s[60:63], 0 offset:436 ; 4-byte Folded Reload
	v_add_f64 v[116:117], v[122:123], v[116:117]
	v_mul_f64 v[122:123], v[139:140], s[16:17]
	v_mul_f64 v[139:140], v[139:140], s[22:23]
	v_add_f64 v[114:115], v[114:115], v[116:117]
	v_mul_f64 v[116:117], v[147:148], s[4:5]
	v_mul_f64 v[147:148], v[147:148], s[18:19]
	s_waitcnt vmcnt(0)
	v_add_f64 v[122:123], v[4:5], v[122:123]
	buffer_load_dword v4, off, s[60:63], 0 offset:488 ; 4-byte Folded Reload
	buffer_load_dword v5, off, s[60:63], 0 offset:492 ; 4-byte Folded Reload
	v_add_f64 v[114:115], v[122:123], v[114:115]
	v_mul_f64 v[122:123], v[173:174], s[4:5]
	s_waitcnt vmcnt(0)
	v_add_f64 v[128:129], v[128:129], -v[4:5]
	buffer_load_dword v4, off, s[60:63], 0 offset:440 ; 4-byte Folded Reload
	buffer_load_dword v5, off, s[60:63], 0 offset:444 ; 4-byte Folded Reload
	v_add_f64 v[100:101], v[128:129], v[100:101]
	v_mul_f64 v[128:129], v[134:135], s[16:17]
	v_mul_f64 v[134:135], v[134:135], s[22:23]
	s_waitcnt vmcnt(0)
	v_add_f64 v[116:117], v[4:5], v[116:117]
	buffer_load_dword v4, off, s[60:63], 0 offset:456 ; 4-byte Folded Reload
	buffer_load_dword v5, off, s[60:63], 0 offset:460 ; 4-byte Folded Reload
	v_add_f64 v[114:115], v[116:117], v[114:115]
	v_mul_f64 v[116:117], v[118:119], s[4:5]
	s_waitcnt vmcnt(0)
	v_add_f64 v[130:131], v[4:5], v[130:131]
	buffer_load_dword v4, off, s[60:63], 0 offset:464 ; 4-byte Folded Reload
	buffer_load_dword v5, off, s[60:63], 0 offset:468 ; 4-byte Folded Reload
	v_add_f64 v[114:115], v[130:131], v[114:115]
	v_mul_f64 v[130:131], v[118:119], s[14:15]
	v_mul_f64 v[118:119], v[118:119], s[20:21]
	s_waitcnt vmcnt(0)
	v_add_f64 v[122:123], v[122:123], -v[4:5]
	buffer_load_dword v4, off, s[60:63], 0 offset:448 ; 4-byte Folded Reload
	buffer_load_dword v5, off, s[60:63], 0 offset:452 ; 4-byte Folded Reload
	s_waitcnt vmcnt(0)
	v_add_f64 v[137:138], v[4:5], v[137:138]
	buffer_load_dword v4, off, s[60:63], 0 offset:400 ; 4-byte Folded Reload
	buffer_load_dword v5, off, s[60:63], 0 offset:404 ; 4-byte Folded Reload
	v_add_f64 v[104:105], v[137:138], v[114:115]
	s_waitcnt vmcnt(0)
	v_add_f64 v[141:142], v[141:142], -v[4:5]
	buffer_load_dword v4, off, s[60:63], 0 offset:392 ; 4-byte Folded Reload
	buffer_load_dword v5, off, s[60:63], 0 offset:396 ; 4-byte Folded Reload
	s_waitcnt vmcnt(0)
	v_add_f64 v[128:129], v[128:129], -v[4:5]
	buffer_load_dword v4, off, s[60:63], 0 offset:368 ; 4-byte Folded Reload
	buffer_load_dword v5, off, s[60:63], 0 offset:372 ; 4-byte Folded Reload
	;; [unrolled: 4-line block ×3, first 2 shown]
	v_add_f64 v[108:109], v[32:33], v[108:109]
	s_waitcnt vmcnt(0)
	v_add_f64 v[118:119], v[118:119], -v[4:5]
	buffer_load_dword v4, off, s[60:63], 0 offset:304 ; 4-byte Folded Reload
	buffer_load_dword v5, off, s[60:63], 0 offset:308 ; 4-byte Folded Reload
	v_add_f64 v[108:109], v[118:119], v[108:109]
	v_mul_f64 v[118:119], v[149:150], s[20:21]
	s_waitcnt vmcnt(0)
	v_add_f64 v[110:111], v[4:5], v[110:111]
	buffer_load_dword v4, off, s[60:63], 0 offset:384 ; 4-byte Folded Reload
	buffer_load_dword v5, off, s[60:63], 0 offset:388 ; 4-byte Folded Reload
	v_add_f64 v[110:111], v[34:35], v[110:111]
	s_waitcnt vmcnt(0)
	v_add_f64 v[124:125], v[124:125], -v[4:5]
	buffer_load_dword v4, off, s[60:63], 0 offset:296 ; 4-byte Folded Reload
	buffer_load_dword v5, off, s[60:63], 0 offset:300 ; 4-byte Folded Reload
	v_add_f64 v[108:109], v[124:125], v[108:109]
	v_mul_f64 v[124:125], v[159:160], s[18:19]
	v_add_f64 v[108:109], v[128:129], v[108:109]
	v_mul_f64 v[128:129], v[173:174], s[22:23]
	v_add_f64 v[92:93], v[141:142], v[108:109]
	s_waitcnt vmcnt(0)
	v_add_f64 v[120:121], v[4:5], v[120:121]
	buffer_load_dword v4, off, s[60:63], 0 offset:288 ; 4-byte Folded Reload
	buffer_load_dword v5, off, s[60:63], 0 offset:292 ; 4-byte Folded Reload
	v_add_f64 v[110:111], v[120:121], v[110:111]
	v_mul_f64 v[120:121], v[149:150], s[16:17]
	v_mul_f64 v[149:150], v[149:150], s[2:3]
	s_waitcnt vmcnt(0)
	v_add_f64 v[126:127], v[4:5], v[126:127]
	buffer_load_dword v4, off, s[60:63], 0 offset:280 ; 4-byte Folded Reload
	buffer_load_dword v5, off, s[60:63], 0 offset:284 ; 4-byte Folded Reload
	v_add_f64 v[110:111], v[126:127], v[110:111]
	v_mul_f64 v[126:127], v[159:160], s[10:11]
	v_mul_f64 v[159:160], v[159:160], s[14:15]
	;; [unrolled: 7-line block ×3, first 2 shown]
	s_waitcnt vmcnt(0)
	v_add_f64 v[147:148], v[4:5], v[147:148]
	buffer_load_dword v4, off, s[60:63], 0 offset:320 ; 4-byte Folded Reload
	buffer_load_dword v5, off, s[60:63], 0 offset:324 ; 4-byte Folded Reload
	v_add_f64 v[88:89], v[147:148], v[110:111]
	s_waitcnt vmcnt(0)
	v_add_f64 v[151:152], v[4:5], v[151:152]
	buffer_load_dword v4, off, s[60:63], 0 offset:360 ; 4-byte Folded Reload
	buffer_load_dword v5, off, s[60:63], 0 offset:364 ; 4-byte Folded Reload
	v_add_f64 v[88:89], v[151:152], v[88:89]
	s_waitcnt vmcnt(0)
	v_add_f64 v[46:47], v[4:5], v[175:176]
	buffer_load_dword v4, off, s[60:63], 0 offset:336 ; 4-byte Folded Reload
	buffer_load_dword v5, off, s[60:63], 0 offset:340 ; 4-byte Folded Reload
	s_waitcnt vmcnt(0)
	v_add_f64 v[82:83], v[149:150], -v[4:5]
	buffer_load_dword v4, off, s[60:63], 0 offset:312 ; 4-byte Folded Reload
	buffer_load_dword v5, off, s[60:63], 0 offset:316 ; 4-byte Folded Reload
	v_add_f64 v[44:45], v[82:83], v[92:93]
	s_waitcnt vmcnt(0)
	v_add_f64 v[108:109], v[4:5], v[161:162]
	buffer_load_dword v4, off, s[60:63], 0 offset:352 ; 4-byte Folded Reload
	buffer_load_dword v5, off, s[60:63], 0 offset:356 ; 4-byte Folded Reload
	v_add_f64 v[88:89], v[108:109], v[88:89]
	s_waitcnt vmcnt(0)
	v_add_f64 v[110:111], v[173:174], -v[4:5]
	buffer_load_dword v4, off, s[60:63], 0 offset:344 ; 4-byte Folded Reload
	buffer_load_dword v5, off, s[60:63], 0 offset:348 ; 4-byte Folded Reload
	s_waitcnt vmcnt(0)
	v_add_f64 v[38:39], v[159:160], -v[4:5]
	buffer_load_dword v4, off, s[60:63], 0 offset:328 ; 4-byte Folded Reload
	buffer_load_dword v5, off, s[60:63], 0 offset:332 ; 4-byte Folded Reload
	s_waitcnt vmcnt(0)
	v_add_f64 v[82:83], v[4:5], v[181:182]
	buffer_load_dword v4, off, s[60:63], 0 offset:80 ; 4-byte Folded Reload
	buffer_load_dword v5, off, s[60:63], 0 offset:84 ; 4-byte Folded Reload
	s_waitcnt vmcnt(0)
	v_add_f64 v[92:93], v[4:5], v[132:133]
	buffer_load_dword v4, off, s[60:63], 0 offset:64 ; 4-byte Folded Reload
	buffer_load_dword v5, off, s[60:63], 0 offset:68 ; 4-byte Folded Reload
	v_add_f64 v[34:35], v[34:35], v[92:93]
	s_waitcnt vmcnt(0)
	v_add_f64 v[40:41], v[112:113], -v[4:5]
	buffer_load_dword v4, off, s[60:63], 0 offset:208 ; 4-byte Folded Reload
	buffer_load_dword v5, off, s[60:63], 0 offset:212 ; 4-byte Folded Reload
	v_add_f64 v[40:41], v[32:33], v[40:41]
	s_waitcnt vmcnt(0)
	v_add_f64 v[42:43], v[106:107], -v[4:5]
	;; [unrolled: 5-line block ×3, first 2 shown]
	buffer_load_dword v4, off, s[60:63], 0 offset:104 ; 4-byte Folded Reload
	buffer_load_dword v5, off, s[60:63], 0 offset:108 ; 4-byte Folded Reload
	v_add_f64 v[32:33], v[106:107], v[32:33]
	s_waitcnt vmcnt(0)
	v_add_f64 v[108:109], v[4:5], v[143:144]
	buffer_load_dword v4, off, s[60:63], 0 offset:96 ; 4-byte Folded Reload
	buffer_load_dword v5, off, s[60:63], 0 offset:100 ; 4-byte Folded Reload
	v_add_f64 v[34:35], v[108:109], v[34:35]
	s_waitcnt vmcnt(0)
	v_add_f64 v[92:93], v[116:117], -v[4:5]
	buffer_load_dword v4, off, s[60:63], 0 offset:224 ; 4-byte Folded Reload
	buffer_load_dword v5, off, s[60:63], 0 offset:228 ; 4-byte Folded Reload
	v_add_f64 v[40:41], v[92:93], v[40:41]
	v_add_f64 v[92:93], v[122:123], v[100:101]
	s_waitcnt vmcnt(0)
	v_add_f64 v[42:43], v[157:158], -v[4:5]
	buffer_load_dword v4, off, s[60:63], 0 offset:120 ; 4-byte Folded Reload
	buffer_load_dword v5, off, s[60:63], 0 offset:124 ; 4-byte Folded Reload
	v_add_f64 v[32:33], v[42:43], v[32:33]
	s_waitcnt vmcnt(0)
	v_add_f64 v[48:49], v[4:5], v[155:156]
	buffer_load_dword v4, off, s[60:63], 0 offset:112 ; 4-byte Folded Reload
	buffer_load_dword v5, off, s[60:63], 0 offset:116 ; 4-byte Folded Reload
	v_add_f64 v[34:35], v[48:49], v[34:35]
	s_waitcnt vmcnt(0)
	v_add_f64 v[50:51], v[153:154], -v[4:5]
	buffer_load_dword v4, off, s[60:63], 0 offset:232 ; 4-byte Folded Reload
	buffer_load_dword v5, off, s[60:63], 0 offset:236 ; 4-byte Folded Reload
	v_add_f64 v[40:41], v[50:51], v[40:41]
	s_waitcnt vmcnt(0)
	v_add_f64 v[52:53], v[134:135], -v[4:5]
	buffer_load_dword v4, off, s[60:63], 0 offset:136 ; 4-byte Folded Reload
	buffer_load_dword v5, off, s[60:63], 0 offset:140 ; 4-byte Folded Reload
	v_add_f64 v[32:33], v[52:53], v[32:33]
	s_waitcnt vmcnt(0)
	v_add_f64 v[54:55], v[4:5], v[165:166]
	buffer_load_dword v4, off, s[60:63], 0 offset:128 ; 4-byte Folded Reload
	buffer_load_dword v5, off, s[60:63], 0 offset:132 ; 4-byte Folded Reload
	v_add_f64 v[34:35], v[54:55], v[34:35]
	s_waitcnt vmcnt(0)
	v_add_f64 v[48:49], v[163:164], -v[4:5]
	buffer_load_dword v4, off, s[60:63], 0 offset:240 ; 4-byte Folded Reload
	buffer_load_dword v5, off, s[60:63], 0 offset:244 ; 4-byte Folded Reload
	;; [unrolled: 15-line block ×4, first 2 shown]
	v_add_f64 v[40:41], v[50:51], v[40:41]
	s_waitcnt vmcnt(0)
	v_add_f64 v[42:43], v[126:127], -v[4:5]
	buffer_load_dword v4, off, s[60:63], 0 offset:184 ; 4-byte Folded Reload
	buffer_load_dword v5, off, s[60:63], 0 offset:188 ; 4-byte Folded Reload
	v_add_f64 v[32:33], v[42:43], v[32:33]
	s_waitcnt vmcnt(0)
	v_add_f64 v[54:55], v[4:5], v[177:178]
	buffer_load_dword v4, off, s[60:63], 0 offset:176 ; 4-byte Folded Reload
	buffer_load_dword v5, off, s[60:63], 0 offset:180 ; 4-byte Folded Reload
	v_add_f64 v[54:55], v[54:55], v[34:35]
	v_add_f64 v[34:35], v[46:47], v[104:105]
	;; [unrolled: 1-line block ×4, first 2 shown]
	s_waitcnt vmcnt(0)
	v_add_f64 v[52:53], v[124:125], -v[4:5]
	buffer_load_dword v4, off, s[60:63], 0 offset:264 ; 4-byte Folded Reload
	buffer_load_dword v5, off, s[60:63], 0 offset:268 ; 4-byte Folded Reload
	v_add_f64 v[40:41], v[52:53], v[40:41]
	v_add_f64 v[52:53], v[38:39], v[44:45]
	;; [unrolled: 1-line block ×5, first 2 shown]
	s_waitcnt vmcnt(0)
	v_add_f64 v[48:49], v[139:140], -v[4:5]
	buffer_load_dword v4, off, s[60:63], 0 offset:200 ; 4-byte Folded Reload
	buffer_load_dword v5, off, s[60:63], 0 offset:204 ; 4-byte Folded Reload
	v_add_f64 v[36:37], v[48:49], v[32:33]
	v_add_f64 v[32:33], v[110:111], v[52:53]
	s_waitcnt vmcnt(0)
	v_add_f64 v[50:51], v[4:5], v[179:180]
	buffer_load_dword v4, off, s[60:63], 0 offset:192 ; 4-byte Folded Reload
	buffer_load_dword v5, off, s[60:63], 0 offset:196 ; 4-byte Folded Reload
	v_add_f64 v[42:43], v[50:51], v[54:55]
	s_waitcnt vmcnt(0)
	v_add_f64 v[56:57], v[128:129], -v[4:5]
	buffer_load_dword v8, off, s[60:63], 0 offset:4 ; 4-byte Folded Reload
	buffer_load_dword v4, off, s[60:63], 0 offset:60 ; 4-byte Folded Reload
	v_add_f64 v[40:41], v[56:57], v[40:41]
	s_waitcnt vmcnt(0)
	v_add_lshl_u32 v8, v8, v4, 4
	ds_write_b128 v8, v[44:47]
	ds_write_b128 v8, v[40:43] offset:16
	ds_write_b128 v8, v[36:39] offset:32
	ds_write_b128 v8, v[32:35] offset:48
	ds_write_b128 v8, v[92:95] offset:64
	ds_write_b128 v8, v[88:91] offset:80
	ds_write_b128 v8, v[78:81] offset:96
	ds_write_b128 v8, v[84:87] offset:112
	ds_write_b128 v8, v[0:3] offset:128
	ds_write_b128 v8, v[28:31] offset:144
	ds_write_b128 v8, v[24:27] offset:160
	ds_write_b128 v8, v[20:23] offset:176
	ds_write_b128 v8, v[16:19] offset:192
	buffer_load_dword v0, off, s[60:63], 0 offset:44 ; 4-byte Folded Reload
	buffer_load_dword v1, off, s[60:63], 0 offset:48 ; 4-byte Folded Reload
	;; [unrolled: 1-line block ×4, first 2 shown]
	s_waitcnt vmcnt(0)
	ds_write_b128 v8, v[0:3] offset:208
	ds_write_b128 v8, v[12:15] offset:224
	buffer_load_dword v0, off, s[60:63], 0 offset:28 ; 4-byte Folded Reload
	buffer_load_dword v1, off, s[60:63], 0 offset:32 ; 4-byte Folded Reload
	;; [unrolled: 1-line block ×4, first 2 shown]
	s_waitcnt vmcnt(0)
	ds_write_b128 v8, v[0:3] offset:240
	buffer_load_dword v0, off, s[60:63], 0 offset:12 ; 4-byte Folded Reload
	buffer_load_dword v1, off, s[60:63], 0 offset:16 ; 4-byte Folded Reload
	;; [unrolled: 1-line block ×4, first 2 shown]
	s_waitcnt vmcnt(0)
	ds_write_b128 v8, v[0:3] offset:256
.LBB0_7:
	s_or_b64 exec, exec, s[24:25]
	s_load_dwordx4 s[0:3], s[0:1], 0x0
	s_waitcnt vmcnt(0) lgkmcnt(0)
	s_barrier
	buffer_load_dword v141, off, s[60:63], 0 ; 4-byte Folded Reload
	s_mov_b32 s11, 0x3fe491b7
	s_mov_b32 s10, 0x523c161c
	;; [unrolled: 1-line block ×14, first 2 shown]
	s_waitcnt vmcnt(0)
	v_lshlrev_b32_e32 v0, 7, v141
	global_load_dwordx4 v[44:47], v0, s[8:9]
	global_load_dwordx4 v[40:43], v0, s[8:9] offset:16
	global_load_dwordx4 v[36:39], v0, s[8:9] offset:32
	;; [unrolled: 1-line block ×7, first 2 shown]
	s_mov_b32 s8, 0x748a0bf8
	buffer_load_dword v0, off, s[60:63], 0 offset:4 ; 4-byte Folded Reload
	s_mov_b32 s9, 0x3fd5e3a8
	s_waitcnt vmcnt(0)
	v_add_lshl_u32 v1, v0, v141, 4
	ds_read_b128 v[64:67], v1
	ds_read_b128 v[68:71], v1 offset:272
	ds_read_b128 v[72:75], v1 offset:544
	;; [unrolled: 1-line block ×8, first 2 shown]
	s_waitcnt lgkmcnt(7)
	v_mul_f64 v[2:3], v[70:71], v[46:47]
	v_mul_f64 v[8:9], v[68:69], v[46:47]
	s_waitcnt lgkmcnt(6)
	v_mul_f64 v[100:101], v[72:73], v[42:43]
	s_waitcnt lgkmcnt(5)
	;; [unrolled: 2-line block ×3, first 2 shown]
	v_mul_f64 v[122:123], v[98:99], v[62:63]
	v_mul_f64 v[124:125], v[96:97], v[62:63]
	v_mul_f64 v[10:11], v[74:75], v[42:43]
	v_mul_f64 v[104:105], v[76:77], v[38:39]
	v_mul_f64 v[106:107], v[82:83], v[181:182]
	v_mul_f64 v[108:109], v[80:81], v[181:182]
	v_mul_f64 v[110:111], v[86:87], v[54:55]
	v_mul_f64 v[112:113], v[84:85], v[54:55]
	v_mul_f64 v[114:115], v[90:91], v[50:51]
	v_mul_f64 v[116:117], v[88:89], v[50:51]
	v_mul_f64 v[118:119], v[94:95], v[58:59]
	v_mul_f64 v[120:121], v[92:93], v[58:59]
	v_fma_f64 v[2:3], v[68:69], v[44:45], -v[2:3]
	v_fma_f64 v[8:9], v[70:71], v[44:45], v[8:9]
	v_fma_f64 v[68:69], v[74:75], v[40:41], v[100:101]
	v_fma_f64 v[70:71], v[76:77], v[36:37], -v[102:103]
	v_fma_f64 v[74:75], v[96:97], v[60:61], -v[122:123]
	v_fma_f64 v[76:77], v[98:99], v[60:61], v[124:125]
	buffer_load_dword v0, off, s[60:63], 0 offset:8 ; 4-byte Folded Reload
	v_fma_f64 v[10:11], v[72:73], v[40:41], -v[10:11]
	v_fma_f64 v[72:73], v[78:79], v[36:37], v[104:105]
	v_fma_f64 v[80:81], v[80:81], v[179:180], -v[106:107]
	v_fma_f64 v[82:83], v[82:83], v[179:180], v[108:109]
	;; [unrolled: 2-line block ×5, first 2 shown]
	v_add_f64 v[94:95], v[2:3], v[74:75]
	v_add_f64 v[96:97], v[8:9], v[76:77]
	v_add_f64 v[2:3], v[2:3], -v[74:75]
	v_add_f64 v[8:9], v[8:9], -v[76:77]
	v_add_f64 v[102:103], v[70:71], v[88:89]
	v_add_f64 v[104:105], v[72:73], v[90:91]
	v_add_f64 v[74:75], v[70:71], -v[88:89]
	v_add_f64 v[88:89], v[72:73], -v[90:91]
	;; [unrolled: 1-line block ×3, first 2 shown]
	v_add_f64 v[72:73], v[80:81], v[84:85]
	v_add_f64 v[90:91], v[82:83], v[86:87]
	v_add_f64 v[76:77], v[82:83], -v[86:87]
	v_add_f64 v[98:99], v[10:11], v[78:79]
	v_add_f64 v[100:101], v[68:69], v[92:93]
	v_add_f64 v[10:11], v[10:11], -v[78:79]
	v_add_f64 v[68:69], v[68:69], -v[92:93]
	v_mul_f64 v[78:79], v[2:3], s[10:11]
	v_mul_f64 v[92:93], v[8:9], s[10:11]
	s_mov_b32 s11, 0xbfe491b7
	v_fma_f64 v[106:107], v[94:95], s[22:23], v[64:65]
	v_fma_f64 v[108:109], v[96:97], s[22:23], v[66:67]
	;; [unrolled: 1-line block ×4, first 2 shown]
	v_mul_f64 v[134:135], v[70:71], s[10:11]
	v_mul_f64 v[137:138], v[76:77], s[10:11]
	v_fma_f64 v[78:79], v[10:11], s[14:15], v[78:79]
	v_fma_f64 v[92:93], v[68:69], s[14:15], v[92:93]
	;; [unrolled: 1-line block ×8, first 2 shown]
	v_add_f64 v[114:115], v[70:71], v[2:3]
	v_add_f64 v[122:123], v[98:99], v[94:95]
	v_mul_f64 v[126:127], v[70:71], s[14:15]
	v_mul_f64 v[128:129], v[76:77], s[14:15]
	v_fma_f64 v[130:131], v[98:99], s[22:23], v[64:65]
	v_fma_f64 v[132:133], v[100:101], s[22:23], v[66:67]
	;; [unrolled: 1-line block ×4, first 2 shown]
	v_fma_f64 v[106:107], v[102:103], -0.5, v[106:107]
	v_fma_f64 v[108:109], v[104:105], -0.5, v[108:109]
	;; [unrolled: 1-line block ×4, first 2 shown]
	v_fma_f64 v[134:135], v[74:75], s[20:21], v[134:135]
	v_fma_f64 v[137:138], v[88:89], s[20:21], v[137:138]
	v_add_f64 v[116:117], v[76:77], v[8:9]
	v_add_f64 v[124:125], v[100:101], v[96:97]
	v_add_f64 v[114:115], v[114:115], -v[10:11]
	v_add_f64 v[139:140], v[72:73], v[122:123]
	v_fma_f64 v[126:127], v[10:11], s[10:11], -v[126:127]
	v_fma_f64 v[78:79], v[70:71], s[8:9], v[78:79]
	v_fma_f64 v[76:77], v[76:77], s[8:9], v[92:93]
	;; [unrolled: 1-line block ×4, first 2 shown]
	v_fma_f64 v[106:107], v[68:69], s[10:11], -v[128:129]
	v_add_f64 v[108:109], v[102:103], v[122:123]
	v_fma_f64 v[98:99], v[98:99], s[16:17], v[110:111]
	v_fma_f64 v[100:101], v[100:101], s[16:17], v[112:113]
	;; [unrolled: 1-line block ×6, first 2 shown]
	v_add_f64 v[118:119], v[64:65], v[102:103]
	v_add_f64 v[120:121], v[66:67], v[104:105]
	v_add_f64 v[116:117], v[116:117], -v[68:69]
	v_add_f64 v[68:69], v[76:77], v[70:71]
	v_add_f64 v[70:71], v[92:93], -v[78:79]
	v_add_f64 v[92:93], v[104:105], v[124:125]
	v_fma_f64 v[126:127], v[74:75], s[4:5], v[126:127]
	v_add_f64 v[72:73], v[110:111], v[98:99]
	v_add_f64 v[74:75], v[100:101], -v[10:11]
	v_fma_f64 v[88:89], v[88:89], s[4:5], v[106:107]
	v_fma_f64 v[98:99], v[102:103], -0.5, v[112:113]
	v_fma_f64 v[100:101], v[104:105], -0.5, v[122:123]
	v_add_f64 v[90:91], v[90:91], v[124:125]
	v_add_f64 v[80:81], v[80:81], v[108:109]
	;; [unrolled: 1-line block ×3, first 2 shown]
	v_fma_f64 v[92:93], v[139:140], -0.5, v[118:119]
	v_fma_f64 v[2:3], v[2:3], s[8:9], v[126:127]
	v_fma_f64 v[8:9], v[8:9], s[8:9], v[88:89]
	v_fma_f64 v[88:89], v[94:95], s[16:17], v[98:99]
	v_fma_f64 v[94:95], v[96:97], s[16:17], v[100:101]
	v_fma_f64 v[90:91], v[90:91], -0.5, v[120:121]
	v_add_f64 v[96:97], v[84:85], v[80:81]
	v_add_f64 v[98:99], v[86:87], v[82:83]
	v_mul_f64 v[100:101], v[114:115], s[4:5]
	v_mul_f64 v[102:103], v[116:117], s[4:5]
	v_fma_f64 v[80:81], v[116:117], s[4:5], v[92:93]
	v_add_f64 v[84:85], v[8:9], v[88:89]
	v_add_f64 v[86:87], v[94:95], -v[2:3]
	v_fma_f64 v[82:83], v[114:115], s[20:21], v[90:91]
	v_fma_f64 v[76:77], v[76:77], -2.0, v[68:69]
	v_fma_f64 v[78:79], v[78:79], 2.0, v[70:71]
	v_add_f64 v[64:65], v[64:65], v[96:97]
	v_add_f64 v[66:67], v[66:67], v[98:99]
	v_fma_f64 v[96:97], v[110:111], -2.0, v[72:73]
	v_fma_f64 v[98:99], v[10:11], 2.0, v[74:75]
	v_fma_f64 v[88:89], v[102:103], -2.0, v[80:81]
	v_fma_f64 v[92:93], v[8:9], -2.0, v[84:85]
	v_fma_f64 v[94:95], v[2:3], 2.0, v[86:87]
	v_fma_f64 v[90:91], v[100:101], 2.0, v[82:83]
	s_waitcnt vmcnt(0)
	v_lshl_add_u32 v0, v141, 4, v0
	ds_write_b128 v0, v[64:67]
	ds_write_b128 v0, v[68:71] offset:272
	ds_write_b128 v0, v[72:75] offset:544
	;; [unrolled: 1-line block ×8, first 2 shown]
	s_waitcnt lgkmcnt(0)
	s_barrier
	s_and_saveexec_b64 s[4:5], vcc
	s_cbranch_execz .LBB0_9
; %bb.8:
	global_load_dwordx4 v[104:107], v255, s[6:7] offset:2448
	ds_read_b128 v[100:103], v0
	s_add_u32 s8, s6, 0x990
	s_addc_u32 s9, s7, 0
	s_waitcnt vmcnt(0) lgkmcnt(0)
	v_mul_f64 v[2:3], v[102:103], v[106:107]
	v_fma_f64 v[108:109], v[100:101], v[104:105], -v[2:3]
	v_mul_f64 v[2:3], v[100:101], v[106:107]
	v_fma_f64 v[110:111], v[102:103], v[104:105], v[2:3]
	global_load_dwordx4 v[104:107], v255, s[8:9] offset:144
	ds_read_b128 v[100:103], v0 offset:144
	ds_write_b128 v0, v[108:111]
	s_waitcnt vmcnt(0) lgkmcnt(1)
	v_mul_f64 v[2:3], v[102:103], v[106:107]
	v_fma_f64 v[108:109], v[100:101], v[104:105], -v[2:3]
	v_mul_f64 v[2:3], v[100:101], v[106:107]
	v_fma_f64 v[110:111], v[102:103], v[104:105], v[2:3]
	global_load_dwordx4 v[104:107], v255, s[8:9] offset:288
	ds_read_b128 v[100:103], v0 offset:288
	ds_write_b128 v0, v[108:111] offset:144
	s_waitcnt vmcnt(0) lgkmcnt(1)
	v_mul_f64 v[2:3], v[102:103], v[106:107]
	v_fma_f64 v[108:109], v[100:101], v[104:105], -v[2:3]
	v_mul_f64 v[2:3], v[100:101], v[106:107]
	v_fma_f64 v[110:111], v[102:103], v[104:105], v[2:3]
	global_load_dwordx4 v[104:107], v255, s[8:9] offset:432
	ds_read_b128 v[100:103], v0 offset:432
	ds_write_b128 v0, v[108:111] offset:288
	s_waitcnt vmcnt(0) lgkmcnt(1)
	v_mul_f64 v[2:3], v[102:103], v[106:107]
	v_fma_f64 v[108:109], v[100:101], v[104:105], -v[2:3]
	v_mul_f64 v[2:3], v[100:101], v[106:107]
	v_fma_f64 v[110:111], v[102:103], v[104:105], v[2:3]
	global_load_dwordx4 v[104:107], v255, s[8:9] offset:576
	ds_read_b128 v[100:103], v0 offset:576
	ds_write_b128 v0, v[108:111] offset:432
	s_waitcnt vmcnt(0) lgkmcnt(1)
	v_mul_f64 v[2:3], v[102:103], v[106:107]
	v_fma_f64 v[108:109], v[100:101], v[104:105], -v[2:3]
	v_mul_f64 v[2:3], v[100:101], v[106:107]
	v_fma_f64 v[110:111], v[102:103], v[104:105], v[2:3]
	global_load_dwordx4 v[104:107], v255, s[8:9] offset:720
	ds_read_b128 v[100:103], v0 offset:720
	ds_write_b128 v0, v[108:111] offset:576
	s_waitcnt vmcnt(0) lgkmcnt(1)
	v_mul_f64 v[2:3], v[102:103], v[106:107]
	v_fma_f64 v[108:109], v[100:101], v[104:105], -v[2:3]
	v_mul_f64 v[2:3], v[100:101], v[106:107]
	v_fma_f64 v[110:111], v[102:103], v[104:105], v[2:3]
	global_load_dwordx4 v[104:107], v255, s[8:9] offset:864
	ds_read_b128 v[100:103], v0 offset:864
	ds_write_b128 v0, v[108:111] offset:720
	s_waitcnt vmcnt(0) lgkmcnt(1)
	v_mul_f64 v[2:3], v[102:103], v[106:107]
	v_fma_f64 v[108:109], v[100:101], v[104:105], -v[2:3]
	v_mul_f64 v[2:3], v[100:101], v[106:107]
	v_fma_f64 v[110:111], v[102:103], v[104:105], v[2:3]
	global_load_dwordx4 v[104:107], v255, s[8:9] offset:1008
	ds_read_b128 v[100:103], v0 offset:1008
	ds_write_b128 v0, v[108:111] offset:864
	s_waitcnt vmcnt(0) lgkmcnt(1)
	v_mul_f64 v[2:3], v[102:103], v[106:107]
	v_fma_f64 v[108:109], v[100:101], v[104:105], -v[2:3]
	v_mul_f64 v[2:3], v[100:101], v[106:107]
	v_fma_f64 v[110:111], v[102:103], v[104:105], v[2:3]
	global_load_dwordx4 v[104:107], v255, s[8:9] offset:1152
	ds_read_b128 v[100:103], v0 offset:1152
	ds_write_b128 v0, v[108:111] offset:1008
	s_waitcnt vmcnt(0) lgkmcnt(1)
	v_mul_f64 v[2:3], v[102:103], v[106:107]
	v_fma_f64 v[108:109], v[100:101], v[104:105], -v[2:3]
	v_mul_f64 v[2:3], v[100:101], v[106:107]
	v_fma_f64 v[110:111], v[102:103], v[104:105], v[2:3]
	global_load_dwordx4 v[104:107], v255, s[8:9] offset:1296
	ds_read_b128 v[100:103], v0 offset:1296
	ds_write_b128 v0, v[108:111] offset:1152
	s_waitcnt vmcnt(0) lgkmcnt(1)
	v_mul_f64 v[2:3], v[102:103], v[106:107]
	v_fma_f64 v[108:109], v[100:101], v[104:105], -v[2:3]
	v_mul_f64 v[2:3], v[100:101], v[106:107]
	v_fma_f64 v[110:111], v[102:103], v[104:105], v[2:3]
	global_load_dwordx4 v[104:107], v255, s[8:9] offset:1440
	ds_read_b128 v[100:103], v0 offset:1440
	ds_write_b128 v0, v[108:111] offset:1296
	s_waitcnt vmcnt(0) lgkmcnt(1)
	v_mul_f64 v[2:3], v[102:103], v[106:107]
	v_fma_f64 v[108:109], v[100:101], v[104:105], -v[2:3]
	v_mul_f64 v[2:3], v[100:101], v[106:107]
	v_fma_f64 v[110:111], v[102:103], v[104:105], v[2:3]
	global_load_dwordx4 v[104:107], v255, s[8:9] offset:1584
	ds_read_b128 v[100:103], v0 offset:1584
	ds_write_b128 v0, v[108:111] offset:1440
	s_waitcnt vmcnt(0) lgkmcnt(1)
	v_mul_f64 v[2:3], v[102:103], v[106:107]
	v_fma_f64 v[108:109], v[100:101], v[104:105], -v[2:3]
	v_mul_f64 v[2:3], v[100:101], v[106:107]
	v_fma_f64 v[110:111], v[102:103], v[104:105], v[2:3]
	global_load_dwordx4 v[104:107], v255, s[8:9] offset:1728
	ds_read_b128 v[100:103], v0 offset:1728
	ds_write_b128 v0, v[108:111] offset:1584
	s_waitcnt vmcnt(0) lgkmcnt(1)
	v_mul_f64 v[2:3], v[102:103], v[106:107]
	v_fma_f64 v[108:109], v[100:101], v[104:105], -v[2:3]
	v_mul_f64 v[2:3], v[100:101], v[106:107]
	v_fma_f64 v[110:111], v[102:103], v[104:105], v[2:3]
	global_load_dwordx4 v[104:107], v255, s[8:9] offset:1872
	ds_read_b128 v[100:103], v0 offset:1872
	ds_write_b128 v0, v[108:111] offset:1728
	s_waitcnt vmcnt(0) lgkmcnt(1)
	v_mul_f64 v[2:3], v[102:103], v[106:107]
	v_fma_f64 v[108:109], v[100:101], v[104:105], -v[2:3]
	v_mul_f64 v[2:3], v[100:101], v[106:107]
	v_fma_f64 v[110:111], v[102:103], v[104:105], v[2:3]
	global_load_dwordx4 v[104:107], v255, s[8:9] offset:2016
	ds_read_b128 v[100:103], v0 offset:2016
	ds_write_b128 v0, v[108:111] offset:1872
	s_waitcnt vmcnt(0) lgkmcnt(1)
	v_mul_f64 v[2:3], v[102:103], v[106:107]
	v_fma_f64 v[108:109], v[100:101], v[104:105], -v[2:3]
	v_mul_f64 v[2:3], v[100:101], v[106:107]
	v_fma_f64 v[110:111], v[102:103], v[104:105], v[2:3]
	global_load_dwordx4 v[104:107], v255, s[8:9] offset:2160
	ds_read_b128 v[100:103], v0 offset:2160
	ds_write_b128 v0, v[108:111] offset:2016
	s_waitcnt vmcnt(0) lgkmcnt(1)
	v_mul_f64 v[2:3], v[102:103], v[106:107]
	v_fma_f64 v[108:109], v[100:101], v[104:105], -v[2:3]
	v_mul_f64 v[2:3], v[100:101], v[106:107]
	v_fma_f64 v[110:111], v[102:103], v[104:105], v[2:3]
	global_load_dwordx4 v[104:107], v255, s[8:9] offset:2304
	ds_read_b128 v[100:103], v0 offset:2304
	ds_write_b128 v0, v[108:111] offset:2160
	s_waitcnt vmcnt(0) lgkmcnt(1)
	v_mul_f64 v[2:3], v[102:103], v[106:107]
	v_fma_f64 v[108:109], v[100:101], v[104:105], -v[2:3]
	v_mul_f64 v[2:3], v[100:101], v[106:107]
	v_fma_f64 v[110:111], v[102:103], v[104:105], v[2:3]
	ds_write_b128 v0, v[108:111] offset:2304
.LBB0_9:
	s_or_b64 exec, exec, s[4:5]
	s_waitcnt lgkmcnt(0)
	s_barrier
	s_and_saveexec_b64 s[4:5], vcc
	s_cbranch_execz .LBB0_11
; %bb.10:
	ds_read_b128 v[64:67], v0
	ds_read_b128 v[68:71], v0 offset:144
	ds_read_b128 v[72:75], v0 offset:288
	;; [unrolled: 1-line block ×13, first 2 shown]
	s_waitcnt lgkmcnt(0)
	buffer_store_dword v2, off, s[60:63], 0 offset:44 ; 4-byte Folded Spill
	s_nop 0
	buffer_store_dword v3, off, s[60:63], 0 offset:48 ; 4-byte Folded Spill
	buffer_store_dword v4, off, s[60:63], 0 offset:52 ; 4-byte Folded Spill
	buffer_store_dword v5, off, s[60:63], 0 offset:56 ; 4-byte Folded Spill
	ds_read_b128 v[12:15], v0 offset:2016
	ds_read_b128 v[2:5], v0 offset:2160
	s_waitcnt lgkmcnt(0)
	buffer_store_dword v2, off, s[60:63], 0 offset:28 ; 4-byte Folded Spill
	s_nop 0
	buffer_store_dword v3, off, s[60:63], 0 offset:32 ; 4-byte Folded Spill
	buffer_store_dword v4, off, s[60:63], 0 offset:36 ; 4-byte Folded Spill
	buffer_store_dword v5, off, s[60:63], 0 offset:40 ; 4-byte Folded Spill
	ds_read_b128 v[8:11], v0 offset:2304
	s_waitcnt lgkmcnt(0)
	buffer_store_dword v8, off, s[60:63], 0 offset:12 ; 4-byte Folded Spill
	s_nop 0
	buffer_store_dword v9, off, s[60:63], 0 offset:16 ; 4-byte Folded Spill
	buffer_store_dword v10, off, s[60:63], 0 offset:20 ; 4-byte Folded Spill
	;; [unrolled: 1-line block ×3, first 2 shown]
.LBB0_11:
	s_or_b64 exec, exec, s[4:5]
	s_waitcnt vmcnt(0)
	s_barrier
	s_and_saveexec_b64 s[4:5], vcc
	s_cbranch_execz .LBB0_13
; %bb.12:
	v_add_f64 v[4:5], v[76:77], -v[28:29]
	buffer_load_dword v32, off, s[60:63], 0 offset:12 ; 4-byte Folded Reload
	buffer_load_dword v33, off, s[60:63], 0 offset:16 ; 4-byte Folded Reload
	buffer_load_dword v34, off, s[60:63], 0 offset:20 ; 4-byte Folded Reload
	buffer_load_dword v35, off, s[60:63], 0 offset:24 ; 4-byte Folded Reload
	s_mov_b32 s50, 0xeb564b22
	s_mov_b32 s51, 0x3fefdd0d
	v_add_f64 v[163:164], v[80:81], -v[12:13]
	v_add_f64 v[151:152], v[82:83], v[14:15]
	v_add_f64 v[175:176], v[82:83], -v[14:15]
	s_mov_b32 s18, 0xacd6c6b4
	v_mov_b32_e32 v242, v5
	v_mul_f64 v[2:3], v[4:5], s[50:51]
	v_mov_b32_e32 v241, v4
	buffer_load_dword v4, off, s[60:63], 0 offset:44 ; 4-byte Folded Reload
	buffer_load_dword v5, off, s[60:63], 0 offset:48 ; 4-byte Folded Reload
	;; [unrolled: 1-line block ×8, first 2 shown]
	s_nop 0
	buffer_store_dword v12, off, s[60:63], 0 offset:64 ; 4-byte Folded Spill
	s_nop 0
	buffer_store_dword v13, off, s[60:63], 0 offset:68 ; 4-byte Folded Spill
	buffer_store_dword v14, off, s[60:63], 0 offset:72 ; 4-byte Folded Spill
	;; [unrolled: 1-line block ×3, first 2 shown]
	s_mov_b32 s19, 0xbfc7851a
	s_mov_b32 s38, 0x5d8e7cdc
	;; [unrolled: 1-line block ×9, first 2 shown]
	v_mul_f64 v[104:105], v[163:164], s[24:25]
	s_mov_b32 s46, 0x2a9d6da3
	s_mov_b32 s16, 0x910ea3b9
	;; [unrolled: 1-line block ×4, first 2 shown]
	v_add_f64 v[159:160], v[92:93], -v[16:17]
	s_mov_b32 s28, 0x6c9a05f6
	s_mov_b32 s22, 0x75d4884
	v_fma_f64 v[110:111], v[151:152], s[16:17], v[104:105]
	s_mov_b32 s29, 0xbfe9895b
	s_mov_b32 s23, 0x3fe7a5f6
	v_add_f64 v[139:140], v[88:89], -v[20:21]
	v_add_f64 v[145:146], v[94:95], v[18:19]
	s_mov_b32 s42, 0x7c9e640b
	s_mov_b32 s26, 0x6ed5f1bb
	s_mov_b32 s43, 0x3feca52d
	s_mov_b32 s27, 0xbfe348c8
	v_add_f64 v[143:144], v[90:91], v[22:23]
	s_mov_b32 s34, 0x2b2883cd
	s_mov_b32 s35, 0x3fdc86fa
	v_add_f64 v[14:15], v[94:95], -v[18:19]
	v_add_f64 v[195:196], v[90:91], -v[22:23]
	v_add_f64 v[193:194], v[92:93], v[16:17]
	v_add_f64 v[141:142], v[96:97], -v[24:25]
	v_add_f64 v[189:190], v[98:99], -v[26:27]
	v_fma_f64 v[104:105], v[151:152], s[16:17], -v[104:105]
	v_add_f64 v[191:192], v[88:89], v[20:21]
	s_mov_b32 s10, 0x923c349f
	s_mov_b32 s11, 0xbfeec746
	v_add_f64 v[157:158], v[98:99], v[26:27]
	v_add_f64 v[185:186], v[78:79], -v[30:31]
	v_mul_f64 v[8:9], v[141:142], s[10:11]
	v_add_f64 v[187:188], v[96:97], v[24:25]
	s_mov_b32 s30, 0xc61f0d01
	s_mov_b32 s31, 0xbfd183b1
	v_add_f64 v[137:138], v[78:79], v[30:31]
	v_add_f64 v[183:184], v[76:77], v[28:29]
	s_mov_b32 s8, 0x3259b75e
	s_mov_b32 s9, 0x3fb79ee6
	v_fma_f64 v[120:121], v[157:158], s[30:31], v[8:9]
	s_mov_b32 s41, 0xbfefdd0d
	s_mov_b32 s40, s50
	v_mul_f64 v[134:135], v[163:164], s[40:41]
	v_mul_f64 v[203:204], v[175:176], s[40:41]
	s_mov_b32 s55, 0x3fe9895b
	s_mov_b32 s54, s28
	;; [unrolled: 1-line block ×4, first 2 shown]
	v_fma_f64 v[8:9], v[157:158], s[30:31], -v[8:9]
	s_mov_b32 s53, 0x3feec746
	v_fma_f64 v[209:210], v[151:152], s[8:9], v[134:135]
	v_fma_f64 v[134:135], v[151:152], s[8:9], -v[134:135]
	s_mov_b32 s52, s10
	s_mov_b32 s45, 0xbfe58eea
	s_mov_b32 s44, s46
	s_mov_b32 s57, 0x3fe0d888
	s_mov_b32 s56, s24
	s_mov_b32 s49, 0xbfeca52d
	s_waitcnt vmcnt(14)
	v_add_f64 v[199:200], v[68:69], -v[32:33]
	s_waitcnt vmcnt(12)
	v_add_f64 v[153:154], v[70:71], v[34:35]
	v_add_f64 v[116:117], v[70:71], -v[34:35]
	v_add_f64 v[169:170], v[68:69], v[32:33]
	s_mov_b32 s48, s42
	v_mul_f64 v[221:222], v[14:15], s[18:19]
	v_add_f64 v[70:71], v[66:67], v[70:71]
	v_add_f64 v[68:69], v[64:65], v[68:69]
	v_mul_f64 v[10:11], v[199:200], s[18:19]
	v_add_f64 v[165:166], v[80:81], v[12:13]
	s_waitcnt vmcnt(10)
	v_add_f64 v[161:162], v[84:85], -v[4:5]
	s_waitcnt vmcnt(6)
	v_add_f64 v[197:198], v[72:73], -v[171:172]
	s_waitcnt vmcnt(4)
	v_add_f64 v[149:150], v[74:75], v[173:174]
	v_add_f64 v[147:148], v[86:87], v[6:7]
	v_add_f64 v[118:119], v[74:75], -v[173:174]
	v_mov_b32_e32 v131, v117
	v_fma_f64 v[102:103], v[153:154], s[14:15], v[10:11]
	v_mov_b32_e32 v130, v116
	v_mul_f64 v[108:109], v[161:162], s[46:47]
	v_mul_f64 v[100:101], v[197:198], s[38:39]
	v_add_f64 v[167:168], v[72:73], v[171:172]
	v_add_f64 v[155:156], v[86:87], -v[6:7]
	v_mov_b32_e32 v133, v119
	v_mov_b32_e32 v132, v118
	v_add_f64 v[102:103], v[66:67], v[102:103]
	v_fma_f64 v[10:11], v[153:154], s[14:15], -v[10:11]
	v_fma_f64 v[112:113], v[147:148], s[22:23], v[108:109]
	v_fma_f64 v[106:107], v[149:150], s[20:21], v[100:101]
	v_add_f64 v[177:178], v[84:85], v[4:5]
	v_mul_f64 v[124:125], v[155:156], s[46:47]
	v_fma_f64 v[100:101], v[149:150], s[20:21], -v[100:101]
	v_fma_f64 v[108:109], v[147:148], s[22:23], -v[108:109]
	;; [unrolled: 1-line block ×3, first 2 shown]
	v_add_f64 v[10:11], v[66:67], v[10:11]
	v_mul_f64 v[213:214], v[161:162], s[24:25]
	v_add_f64 v[102:103], v[106:107], v[102:103]
	v_mul_f64 v[106:107], v[159:160], s[28:29]
	v_fma_f64 v[128:129], v[177:178], s[22:23], -v[124:125]
	v_fma_f64 v[124:125], v[177:178], s[22:23], v[124:125]
	v_fma_f64 v[225:226], v[193:194], s[14:15], -v[221:222]
	v_mov_b32_e32 v12, v241
	v_add_f64 v[10:11], v[100:101], v[10:11]
	v_mul_f64 v[100:101], v[195:196], s[42:43]
	v_add_f64 v[102:103], v[110:111], v[102:103]
	v_mul_f64 v[110:111], v[139:140], s[42:43]
	v_fma_f64 v[114:115], v[145:146], s[26:27], v[106:107]
	v_fma_f64 v[106:107], v[145:146], s[26:27], -v[106:107]
	v_mov_b32_e32 v13, v242
	v_add_f64 v[70:71], v[70:71], v[74:75]
	v_add_f64 v[10:11], v[104:105], v[10:11]
	v_mul_f64 v[104:105], v[189:190], s[10:11]
	v_add_f64 v[102:103], v[112:113], v[102:103]
	v_mul_f64 v[112:113], v[116:117], s[18:19]
	v_fma_f64 v[116:117], v[143:144], s[34:35], v[110:111]
	v_fma_f64 v[110:111], v[143:144], s[34:35], -v[110:111]
	v_add_f64 v[68:69], v[68:69], v[72:73]
	v_add_f64 v[70:71], v[70:71], v[82:83]
	;; [unrolled: 1-line block ×3, first 2 shown]
	v_mul_f64 v[108:109], v[185:186], s[50:51]
	v_add_f64 v[102:103], v[114:115], v[102:103]
	v_mul_f64 v[114:115], v[118:119], s[38:39]
	v_fma_f64 v[118:119], v[169:170], s[14:15], -v[112:113]
	v_fma_f64 v[112:113], v[169:170], s[14:15], v[112:113]
	v_add_f64 v[68:69], v[68:69], v[80:81]
	v_add_f64 v[70:71], v[70:71], v[86:87]
	;; [unrolled: 1-line block ×3, first 2 shown]
	v_fma_f64 v[106:107], v[137:138], s[8:9], v[2:3]
	v_add_f64 v[102:103], v[116:117], v[102:103]
	v_mul_f64 v[116:117], v[175:176], s[24:25]
	v_fma_f64 v[122:123], v[167:168], s[20:21], -v[114:115]
	v_add_f64 v[118:119], v[64:65], v[118:119]
	v_fma_f64 v[114:115], v[167:168], s[20:21], v[114:115]
	v_add_f64 v[112:113], v[64:65], v[112:113]
	v_add_f64 v[10:11], v[110:111], v[10:11]
	v_mul_f64 v[110:111], v[139:140], s[18:19]
	v_add_f64 v[102:103], v[120:121], v[102:103]
	v_fma_f64 v[126:127], v[165:166], s[16:17], -v[116:117]
	v_fma_f64 v[116:117], v[165:166], s[16:17], v[116:117]
	v_add_f64 v[118:119], v[122:123], v[118:119]
	v_mul_f64 v[122:123], v[14:15], s[28:29]
	v_add_f64 v[112:113], v[114:115], v[112:113]
	v_fma_f64 v[114:115], v[191:192], s[34:35], -v[100:101]
	v_fma_f64 v[120:121], v[183:184], s[8:9], -v[108:109]
	v_add_f64 v[102:103], v[106:107], v[102:103]
	v_add_f64 v[8:9], v[8:9], v[10:11]
	v_mul_f64 v[10:11], v[141:142], s[46:47]
	v_add_f64 v[118:119], v[126:127], v[118:119]
	v_fma_f64 v[126:127], v[193:194], s[26:27], -v[122:123]
	v_add_f64 v[112:113], v[116:117], v[112:113]
	v_fma_f64 v[116:117], v[187:188], s[30:31], -v[104:105]
	v_fma_f64 v[104:105], v[187:188], s[30:31], v[104:105]
	v_fma_f64 v[108:109], v[183:184], s[8:9], v[108:109]
	v_fma_f64 v[2:3], v[137:138], s[8:9], -v[2:3]
	v_add_f64 v[68:69], v[68:69], v[84:85]
	v_add_f64 v[118:119], v[128:129], v[118:119]
	v_mul_f64 v[128:129], v[161:162], s[54:55]
	v_add_f64 v[112:113], v[124:125], v[112:113]
	v_mul_f64 v[124:125], v[197:198], s[42:43]
	;; [unrolled: 2-line block ×3, first 2 shown]
	v_mul_f64 v[80:81], v[159:160], s[10:11]
	v_add_f64 v[92:93], v[68:69], v[92:93]
	v_add_f64 v[118:119], v[126:127], v[118:119]
	v_fma_f64 v[207:208], v[147:148], s[26:27], v[128:129]
	v_fma_f64 v[128:129], v[147:148], s[26:27], -v[128:129]
	v_fma_f64 v[201:202], v[149:150], s[34:35], v[124:125]
	v_fma_f64 v[124:125], v[149:150], s[34:35], -v[124:125]
	v_fma_f64 v[82:83], v[147:148], s[8:9], v[72:73]
	v_mul_f64 v[84:85], v[139:140], s[28:29]
	v_fma_f64 v[86:87], v[145:146], s[30:31], v[80:81]
	v_add_f64 v[114:115], v[114:115], v[118:119]
	v_fma_f64 v[118:119], v[193:194], s[26:27], v[122:123]
	v_mul_f64 v[94:95], v[141:142], s[24:25]
	v_mul_f64 v[251:252], v[185:186], s[38:39]
	v_add_f64 v[114:115], v[116:117], v[114:115]
	v_fma_f64 v[116:117], v[191:192], s[34:35], v[100:101]
	v_add_f64 v[112:113], v[118:119], v[112:113]
	v_fma_f64 v[118:119], v[143:144], s[14:15], v[110:111]
	v_fma_f64 v[110:111], v[143:144], s[14:15], -v[110:111]
	v_add_f64 v[100:101], v[120:121], v[114:115]
	v_mul_f64 v[114:115], v[241:242], s[10:11]
	v_add_f64 v[106:107], v[116:117], v[112:113]
	buffer_store_dword v100, off, s[60:63], 0 offset:80 ; 4-byte Folded Spill
	s_nop 0
	buffer_store_dword v101, off, s[60:63], 0 offset:84 ; 4-byte Folded Spill
	buffer_store_dword v102, off, s[60:63], 0 offset:88 ; 4-byte Folded Spill
	;; [unrolled: 1-line block ×3, first 2 shown]
	v_mov_b32_e32 v100, v130
	v_mov_b32_e32 v101, v131
	v_add_f64 v[104:105], v[104:105], v[106:107]
	v_mul_f64 v[106:107], v[199:200], s[24:25]
	v_mul_f64 v[120:121], v[100:101], s[24:25]
	v_mov_b32_e32 v102, v132
	v_mov_b32_e32 v103, v133
	v_mul_f64 v[130:131], v[102:103], s[42:43]
	v_mul_f64 v[112:113], v[159:160], s[36:37]
	v_fma_f64 v[116:117], v[157:158], s[22:23], v[10:11]
	v_fma_f64 v[10:11], v[157:158], s[22:23], -v[10:11]
	v_fma_f64 v[126:127], v[153:154], s[16:17], v[106:107]
	v_fma_f64 v[132:133], v[169:170], s[16:17], -v[120:121]
	v_fma_f64 v[106:107], v[153:154], s[16:17], -v[106:107]
	v_fma_f64 v[120:121], v[169:170], s[16:17], v[120:121]
	v_fma_f64 v[205:206], v[167:168], s[34:35], -v[130:131]
	v_fma_f64 v[130:131], v[167:168], s[34:35], v[130:131]
	v_fma_f64 v[122:123], v[145:146], s[20:21], v[112:113]
	v_fma_f64 v[112:113], v[145:146], s[20:21], -v[112:113]
	v_add_f64 v[126:127], v[66:67], v[126:127]
	v_add_f64 v[132:133], v[64:65], v[132:133]
	;; [unrolled: 1-line block ×6, first 2 shown]
	v_mul_f64 v[201:202], v[155:156], s[54:55]
	v_add_f64 v[132:133], v[205:206], v[132:133]
	v_mul_f64 v[205:206], v[14:15], s[36:37]
	v_add_f64 v[106:107], v[124:125], v[106:107]
	v_fma_f64 v[124:125], v[165:166], s[8:9], v[203:204]
	v_add_f64 v[120:121], v[130:131], v[120:121]
	v_mul_f64 v[130:131], v[195:196], s[18:19]
	v_add_f64 v[126:127], v[209:210], v[126:127]
	v_fma_f64 v[209:210], v[177:178], s[26:27], -v[201:202]
	v_add_f64 v[132:133], v[211:212], v[132:133]
	v_fma_f64 v[203:204], v[193:194], s[20:21], -v[205:206]
	v_add_f64 v[106:107], v[134:135], v[106:107]
	v_fma_f64 v[134:135], v[177:178], s[26:27], v[201:202]
	v_add_f64 v[120:121], v[124:125], v[120:121]
	v_mul_f64 v[124:125], v[189:190], s[46:47]
	v_add_f64 v[126:127], v[207:208], v[126:127]
	v_add_f64 v[132:133], v[209:210], v[132:133]
	v_mul_f64 v[209:210], v[175:176], s[36:37]
	v_add_f64 v[106:107], v[128:129], v[106:107]
	v_fma_f64 v[128:129], v[193:194], s[20:21], v[205:206]
	v_add_f64 v[120:121], v[134:135], v[120:121]
	v_fma_f64 v[134:135], v[187:188], s[22:23], -v[124:125]
	v_add_f64 v[122:123], v[122:123], v[126:127]
	v_fma_f64 v[126:127], v[191:192], s[14:15], -v[130:131]
	v_add_f64 v[132:133], v[203:204], v[132:133]
	v_fma_f64 v[124:125], v[187:188], s[22:23], v[124:125]
	v_add_f64 v[106:107], v[112:113], v[106:107]
	v_fma_f64 v[112:113], v[191:192], s[14:15], v[130:131]
	v_add_f64 v[120:121], v[128:129], v[120:121]
	v_mul_f64 v[205:206], v[163:164], s[36:37]
	v_add_f64 v[118:119], v[118:119], v[122:123]
	v_mul_f64 v[122:123], v[185:186], s[10:11]
	v_add_f64 v[126:127], v[126:127], v[132:133]
	v_fma_f64 v[217:218], v[165:166], s[20:21], -v[209:210]
	v_add_f64 v[130:131], v[110:111], v[106:107]
	v_add_f64 v[110:111], v[2:3], v[8:9]
	;; [unrolled: 1-line block ×3, first 2 shown]
	v_fma_f64 v[215:216], v[151:152], s[20:21], v[205:206]
	v_add_f64 v[116:117], v[116:117], v[118:119]
	v_fma_f64 v[118:119], v[183:184], s[30:31], -v[122:123]
	v_add_f64 v[126:127], v[134:135], v[126:127]
	v_mul_f64 v[134:135], v[102:103], s[52:53]
	v_add_f64 v[8:9], v[10:11], v[130:131]
	v_fma_f64 v[205:206], v[151:152], s[20:21], -v[205:206]
	v_add_f64 v[112:113], v[124:125], v[112:113]
	v_mul_f64 v[124:125], v[100:101], s[28:29]
	v_fma_f64 v[10:11], v[183:184], s[30:31], v[122:123]
	v_mul_f64 v[122:123], v[159:160], s[50:51]
	v_add_f64 v[104:105], v[118:119], v[126:127]
	v_mul_f64 v[118:119], v[199:200], s[28:29]
	v_mul_f64 v[126:127], v[197:198], s[52:53]
	v_fma_f64 v[211:212], v[167:168], s[30:31], -v[134:135]
	v_fma_f64 v[134:135], v[167:168], s[30:31], v[134:135]
	v_fma_f64 v[201:202], v[169:170], s[26:27], -v[124:125]
	v_fma_f64 v[124:125], v[169:170], s[26:27], v[124:125]
	v_fma_f64 v[209:210], v[165:166], s[20:21], v[209:210]
	;; [unrolled: 1-line block ×4, first 2 shown]
	v_fma_f64 v[118:119], v[153:154], s[26:27], -v[118:119]
	v_fma_f64 v[207:208], v[149:150], s[30:31], v[126:127]
	v_fma_f64 v[126:127], v[149:150], s[30:31], -v[126:127]
	v_add_f64 v[201:202], v[64:65], v[201:202]
	v_add_f64 v[124:125], v[64:65], v[124:125]
	v_mul_f64 v[120:121], v[139:140], s[44:45]
	v_fma_f64 v[203:204], v[145:146], s[8:9], v[122:123]
	v_add_f64 v[130:131], v[66:67], v[130:131]
	v_add_f64 v[118:119], v[66:67], v[118:119]
	v_fma_f64 v[122:123], v[145:146], s[8:9], -v[122:123]
	v_add_f64 v[106:107], v[128:129], v[116:117]
	v_add_f64 v[201:202], v[211:212], v[201:202]
	v_fma_f64 v[211:212], v[147:148], s[16:17], v[213:214]
	v_fma_f64 v[213:214], v[147:148], s[16:17], -v[213:214]
	v_add_f64 v[124:125], v[134:135], v[124:125]
	v_add_f64 v[130:131], v[207:208], v[130:131]
	v_mul_f64 v[207:208], v[155:156], s[24:25]
	v_add_f64 v[118:119], v[126:127], v[118:119]
	v_mul_f64 v[116:117], v[141:142], s[18:19]
	v_add_f64 v[201:202], v[217:218], v[201:202]
	v_fma_f64 v[132:133], v[143:144], s[22:23], v[120:121]
	v_mul_f64 v[134:135], v[189:190], s[18:19]
	v_add_f64 v[124:125], v[209:210], v[124:125]
	v_add_f64 v[126:127], v[215:216], v[130:131]
	v_mul_f64 v[130:131], v[14:15], s[50:51]
	v_fma_f64 v[215:216], v[177:178], s[16:17], -v[207:208]
	v_add_f64 v[118:119], v[205:206], v[118:119]
	v_mul_f64 v[205:206], v[195:196], s[44:45]
	v_fma_f64 v[207:208], v[177:178], s[16:17], v[207:208]
	v_fma_f64 v[120:121], v[143:144], s[22:23], -v[120:121]
	v_fma_f64 v[2:3], v[137:138], s[30:31], -v[114:115]
	v_add_f64 v[126:127], v[211:212], v[126:127]
	v_fma_f64 v[211:212], v[193:194], s[8:9], -v[130:131]
	v_add_f64 v[201:202], v[215:216], v[201:202]
	v_add_f64 v[118:119], v[213:214], v[118:119]
	v_fma_f64 v[130:131], v[193:194], s[8:9], v[130:131]
	v_add_f64 v[124:125], v[207:208], v[124:125]
	v_mul_f64 v[114:115], v[241:242], s[42:43]
	v_fma_f64 v[128:129], v[157:158], s[14:15], v[116:117]
	v_add_f64 v[126:127], v[203:204], v[126:127]
	v_fma_f64 v[203:204], v[191:192], s[22:23], -v[205:206]
	v_add_f64 v[201:202], v[211:212], v[201:202]
	v_add_f64 v[118:119], v[122:123], v[118:119]
	v_fma_f64 v[116:117], v[157:158], s[14:15], -v[116:117]
	v_add_f64 v[124:125], v[130:131], v[124:125]
	v_mul_f64 v[209:210], v[175:176], s[46:47]
	v_mul_f64 v[217:218], v[155:156], s[48:49]
	v_add_f64 v[122:123], v[132:133], v[126:127]
	v_mul_f64 v[126:127], v[185:186], s[42:43]
	v_fma_f64 v[132:133], v[187:188], s[14:15], -v[134:135]
	v_add_f64 v[201:202], v[203:204], v[201:202]
	v_add_f64 v[118:119], v[120:121], v[118:119]
	v_fma_f64 v[203:204], v[191:192], s[22:23], v[205:206]
	v_fma_f64 v[120:121], v[137:138], s[34:35], v[114:115]
	v_mul_f64 v[205:206], v[161:162], s[48:49]
	v_add_f64 v[122:123], v[128:129], v[122:123]
	v_fma_f64 v[128:129], v[183:184], s[34:35], -v[126:127]
	v_fma_f64 v[219:220], v[165:166], s[22:23], -v[209:210]
	v_add_f64 v[132:133], v[132:133], v[201:202]
	v_fma_f64 v[201:202], v[137:138], s[34:35], -v[114:115]
	v_add_f64 v[130:131], v[116:117], v[118:119]
	v_add_f64 v[118:119], v[2:3], v[8:9]
	v_add_f64 v[116:117], v[10:11], v[112:113]
	v_mul_f64 v[8:9], v[199:200], s[10:11]
	v_add_f64 v[10:11], v[203:204], v[124:125]
	v_fma_f64 v[124:125], v[183:184], s[34:35], v[126:127]
	v_mul_f64 v[126:127], v[100:101], s[10:11]
	v_add_f64 v[114:115], v[120:121], v[122:123]
	v_add_f64 v[112:113], v[128:129], v[132:133]
	;; [unrolled: 1-line block ×3, first 2 shown]
	v_mul_f64 v[120:121], v[197:198], s[56:57]
	v_fma_f64 v[128:129], v[153:154], s[30:31], v[8:9]
	v_mul_f64 v[201:202], v[102:103], s[56:57]
	v_fma_f64 v[2:3], v[187:188], s[14:15], v[134:135]
	v_fma_f64 v[203:204], v[169:170], s[30:31], -v[126:127]
	v_mul_f64 v[132:133], v[163:164], s[46:47]
	v_fma_f64 v[8:9], v[153:154], s[30:31], -v[8:9]
	v_mul_f64 v[213:214], v[159:160], s[18:19]
	v_fma_f64 v[134:135], v[149:150], s[16:17], v[120:121]
	v_add_f64 v[128:129], v[66:67], v[128:129]
	v_fma_f64 v[211:212], v[167:168], s[16:17], -v[201:202]
	v_fma_f64 v[120:121], v[149:150], s[16:17], -v[120:121]
	v_add_f64 v[203:204], v[64:65], v[203:204]
	v_fma_f64 v[207:208], v[151:152], s[22:23], v[132:133]
	v_add_f64 v[8:9], v[66:67], v[8:9]
	v_fma_f64 v[215:216], v[147:148], s[34:35], v[205:206]
	v_fma_f64 v[223:224], v[177:178], s[34:35], -v[217:218]
	v_add_f64 v[128:129], v[134:135], v[128:129]
	v_fma_f64 v[132:133], v[151:152], s[22:23], -v[132:133]
	v_fma_f64 v[126:127], v[169:170], s[30:31], v[126:127]
	v_add_f64 v[203:204], v[211:212], v[203:204]
	v_fma_f64 v[211:212], v[145:146], s[14:15], v[213:214]
	v_add_f64 v[8:9], v[120:121], v[8:9]
	v_fma_f64 v[205:206], v[147:148], s[34:35], -v[205:206]
	v_mul_f64 v[130:131], v[141:142], s[36:37]
	v_add_f64 v[128:129], v[207:208], v[128:129]
	v_mul_f64 v[207:208], v[139:140], s[50:51]
	v_fma_f64 v[201:202], v[167:168], s[16:17], v[201:202]
	v_add_f64 v[203:204], v[219:220], v[203:204]
	v_mul_f64 v[219:220], v[195:196], s[50:51]
	v_add_f64 v[8:9], v[132:133], v[8:9]
	v_add_f64 v[126:127], v[64:65], v[126:127]
	v_fma_f64 v[213:214], v[145:146], s[14:15], -v[213:214]
	v_add_f64 v[128:129], v[215:216], v[128:129]
	v_fma_f64 v[215:216], v[143:144], s[8:9], v[207:208]
	v_add_f64 v[2:3], v[2:3], v[10:11]
	v_add_f64 v[120:121], v[223:224], v[203:204]
	v_mul_f64 v[203:204], v[189:190], s[36:37]
	v_add_f64 v[8:9], v[205:206], v[8:9]
	v_mul_f64 v[10:11], v[241:242], s[28:29]
	v_fma_f64 v[134:135], v[157:158], s[20:21], v[130:131]
	v_add_f64 v[128:129], v[211:212], v[128:129]
	v_fma_f64 v[211:212], v[191:192], s[8:9], -v[219:220]
	v_mul_f64 v[132:133], v[185:186], s[28:29]
	v_add_f64 v[120:121], v[225:226], v[120:121]
	v_fma_f64 v[209:210], v[165:166], s[22:23], v[209:210]
	v_add_f64 v[126:127], v[201:202], v[126:127]
	v_fma_f64 v[205:206], v[143:144], s[8:9], -v[207:208]
	v_add_f64 v[8:9], v[213:214], v[8:9]
	v_add_f64 v[128:129], v[215:216], v[128:129]
	v_fma_f64 v[215:216], v[187:188], s[20:21], -v[203:204]
	v_fma_f64 v[201:202], v[137:138], s[26:27], v[10:11]
	v_add_f64 v[120:121], v[211:212], v[120:121]
	v_fma_f64 v[207:208], v[177:178], s[34:35], v[217:218]
	v_add_f64 v[209:210], v[209:210], v[126:127]
	v_mul_f64 v[223:224], v[14:15], s[48:49]
	v_add_f64 v[8:9], v[205:206], v[8:9]
	v_add_f64 v[128:129], v[134:135], v[128:129]
	v_fma_f64 v[134:135], v[183:184], s[26:27], -v[132:133]
	v_mul_f64 v[205:206], v[100:101], s[40:41]
	v_add_f64 v[211:212], v[215:216], v[120:121]
	v_add_f64 v[120:121], v[124:125], v[2:3]
	v_fma_f64 v[2:3], v[157:158], s[20:21], -v[130:131]
	v_mul_f64 v[130:131], v[199:200], s[40:41]
	v_mul_f64 v[215:216], v[175:176], s[52:53]
	v_add_f64 v[126:127], v[201:202], v[128:129]
	v_fma_f64 v[128:129], v[193:194], s[14:15], v[221:222]
	v_add_f64 v[201:202], v[207:208], v[209:210]
	v_add_f64 v[124:125], v[134:135], v[211:212]
	v_mul_f64 v[207:208], v[197:198], s[18:19]
	v_add_f64 v[2:3], v[2:3], v[8:9]
	v_fma_f64 v[209:210], v[153:154], s[8:9], v[130:131]
	v_fma_f64 v[8:9], v[187:188], s[20:21], v[203:204]
	v_mul_f64 v[203:204], v[102:103], s[18:19]
	v_fma_f64 v[211:212], v[169:170], s[8:9], -v[205:206]
	v_fma_f64 v[134:135], v[191:192], s[8:9], v[219:220]
	v_add_f64 v[128:129], v[128:129], v[201:202]
	v_mul_f64 v[201:202], v[163:164], s[52:53]
	v_fma_f64 v[213:214], v[149:150], s[14:15], v[207:208]
	v_add_f64 v[209:210], v[66:67], v[209:210]
	v_fma_f64 v[130:131], v[153:154], s[8:9], -v[130:131]
	v_fma_f64 v[217:218], v[167:168], s[14:15], -v[203:204]
	v_add_f64 v[211:212], v[64:65], v[211:212]
	v_fma_f64 v[221:222], v[165:166], s[30:31], -v[215:216]
	v_add_f64 v[128:129], v[134:135], v[128:129]
	v_mul_f64 v[134:135], v[161:162], s[38:39]
	v_fma_f64 v[219:220], v[151:152], s[30:31], v[201:202]
	v_add_f64 v[209:210], v[213:214], v[209:210]
	v_mul_f64 v[213:214], v[155:156], s[38:39]
	v_fma_f64 v[207:208], v[149:150], s[14:15], -v[207:208]
	v_add_f64 v[211:212], v[217:218], v[211:212]
	v_add_f64 v[130:131], v[66:67], v[130:131]
	;; [unrolled: 1-line block ×3, first 2 shown]
	v_mul_f64 v[128:129], v[159:160], s[48:49]
	v_fma_f64 v[217:218], v[147:148], s[20:21], v[134:135]
	v_add_f64 v[209:210], v[219:220], v[209:210]
	v_fma_f64 v[225:226], v[177:178], s[20:21], -v[213:214]
	v_mul_f64 v[219:220], v[139:140], s[24:25]
	v_add_f64 v[211:212], v[221:222], v[211:212]
	v_fma_f64 v[201:202], v[151:152], s[30:31], -v[201:202]
	v_add_f64 v[130:131], v[207:208], v[130:131]
	v_fma_f64 v[221:222], v[145:146], s[34:35], v[128:129]
	v_mul_f64 v[207:208], v[195:196], s[24:25]
	v_add_f64 v[209:210], v[217:218], v[209:210]
	v_fma_f64 v[227:228], v[193:194], s[34:35], -v[223:224]
	v_mul_f64 v[217:218], v[141:142], s[54:55]
	v_add_f64 v[211:212], v[225:226], v[211:212]
	v_fma_f64 v[225:226], v[143:144], s[16:17], v[219:220]
	v_fma_f64 v[134:135], v[147:148], s[20:21], -v[134:135]
	v_add_f64 v[130:131], v[201:202], v[130:131]
	v_mul_f64 v[201:202], v[189:190], s[54:55]
	v_add_f64 v[209:210], v[221:222], v[209:210]
	v_fma_f64 v[229:230], v[191:192], s[16:17], -v[207:208]
	v_fma_f64 v[205:206], v[169:170], s[8:9], v[205:206]
	v_add_f64 v[211:212], v[227:228], v[211:212]
	v_fma_f64 v[227:228], v[157:158], s[26:27], v[217:218]
	v_fma_f64 v[128:129], v[145:146], s[34:35], -v[128:129]
	v_add_f64 v[130:131], v[134:135], v[130:131]
	v_fma_f64 v[134:135], v[187:188], s[26:27], -v[201:202]
	v_add_f64 v[209:210], v[225:226], v[209:210]
	v_mul_f64 v[225:226], v[185:186], s[46:47]
	v_fma_f64 v[10:11], v[137:138], s[26:27], -v[10:11]
	v_add_f64 v[211:212], v[229:230], v[211:212]
	v_fma_f64 v[203:204], v[167:168], s[14:15], v[203:204]
	v_add_f64 v[205:206], v[64:65], v[205:206]
	v_fma_f64 v[219:220], v[143:144], s[16:17], -v[219:220]
	v_add_f64 v[128:129], v[128:129], v[130:131]
	v_add_f64 v[130:131], v[227:228], v[209:210]
	v_fma_f64 v[209:210], v[183:184], s[22:23], -v[225:226]
	v_fma_f64 v[132:133], v[183:184], s[26:27], v[132:133]
	v_add_f64 v[211:212], v[134:135], v[211:212]
	v_add_f64 v[134:135], v[10:11], v[2:3]
	v_fma_f64 v[2:3], v[165:166], s[30:31], v[215:216]
	v_add_f64 v[10:11], v[203:204], v[205:206]
	v_fma_f64 v[203:204], v[157:158], s[26:27], -v[217:218]
	v_add_f64 v[205:206], v[219:220], v[128:129]
	v_mul_f64 v[221:222], v[241:242], s[46:47]
	v_add_f64 v[132:133], v[132:133], v[8:9]
	v_add_f64 v[128:129], v[209:210], v[211:212]
	v_mul_f64 v[209:210], v[199:200], s[48:49]
	v_fma_f64 v[8:9], v[177:178], s[20:21], v[213:214]
	v_add_f64 v[2:3], v[2:3], v[10:11]
	v_mul_f64 v[213:214], v[197:198], s[28:29]
	v_add_f64 v[203:204], v[203:204], v[205:206]
	v_fma_f64 v[205:206], v[191:192], s[16:17], v[207:208]
	v_mul_f64 v[207:208], v[100:101], s[48:49]
	s_mov_b32 s51, 0x3fc7851a
	v_fma_f64 v[215:216], v[153:154], s[34:35], v[209:210]
	s_mov_b32 s50, s18
	v_fma_f64 v[229:230], v[137:138], s[22:23], v[221:222]
	v_fma_f64 v[10:11], v[137:138], s[22:23], -v[221:222]
	v_fma_f64 v[211:212], v[193:194], s[34:35], v[223:224]
	v_add_f64 v[2:3], v[8:9], v[2:3]
	v_mul_f64 v[8:9], v[102:103], s[28:29]
	v_fma_f64 v[217:218], v[169:170], s[34:35], -v[207:208]
	v_mul_f64 v[219:220], v[163:164], s[50:51]
	v_fma_f64 v[221:222], v[149:150], s[26:27], v[213:214]
	v_add_f64 v[215:216], v[66:67], v[215:216]
	v_fma_f64 v[209:210], v[153:154], s[34:35], -v[209:210]
	v_add_f64 v[130:131], v[229:230], v[130:131]
	v_add_f64 v[2:3], v[211:212], v[2:3]
	v_mul_f64 v[211:212], v[175:176], s[50:51]
	v_fma_f64 v[223:224], v[167:168], s[26:27], -v[8:9]
	v_add_f64 v[217:218], v[64:65], v[217:218]
	v_mul_f64 v[227:228], v[161:162], s[52:53]
	v_fma_f64 v[229:230], v[151:152], s[14:15], v[219:220]
	v_add_f64 v[215:216], v[221:222], v[215:216]
	v_fma_f64 v[213:214], v[149:150], s[26:27], -v[213:214]
	v_add_f64 v[209:210], v[66:67], v[209:210]
	v_add_f64 v[2:3], v[205:206], v[2:3]
	v_mul_f64 v[221:222], v[155:156], s[52:53]
	v_fma_f64 v[205:206], v[165:166], s[14:15], -v[211:212]
	v_add_f64 v[217:218], v[223:224], v[217:218]
	v_mul_f64 v[223:224], v[159:160], s[46:47]
	v_fma_f64 v[231:232], v[147:148], s[30:31], v[227:228]
	v_add_f64 v[215:216], v[229:230], v[215:216]
	v_fma_f64 v[219:220], v[151:152], s[14:15], -v[219:220]
	v_add_f64 v[209:210], v[213:214], v[209:210]
	v_fma_f64 v[201:202], v[187:188], s[26:27], v[201:202]
	v_mul_f64 v[229:230], v[14:15], s[46:47]
	v_fma_f64 v[233:234], v[177:178], s[30:31], -v[221:222]
	v_add_f64 v[205:206], v[205:206], v[217:218]
	v_mul_f64 v[217:218], v[139:140], s[36:37]
	v_fma_f64 v[235:236], v[145:146], s[22:23], v[223:224]
	v_add_f64 v[215:216], v[231:232], v[215:216]
	v_fma_f64 v[227:228], v[147:148], s[30:31], -v[227:228]
	v_add_f64 v[209:210], v[219:220], v[209:210]
	v_fma_f64 v[237:238], v[193:194], s[22:23], -v[229:230]
	v_mul_f64 v[213:214], v[141:142], s[40:41]
	v_add_f64 v[205:206], v[233:234], v[205:206]
	v_fma_f64 v[233:234], v[143:144], s[20:21], v[217:218]
	v_fma_f64 v[223:224], v[145:146], s[22:23], -v[223:224]
	v_add_f64 v[215:216], v[235:236], v[215:216]
	v_fma_f64 v[225:226], v[183:184], s[22:23], v[225:226]
	v_add_f64 v[209:210], v[227:228], v[209:210]
	v_add_f64 v[2:3], v[201:202], v[2:3]
	v_mul_f64 v[231:232], v[195:196], s[36:37]
	v_add_f64 v[205:206], v[237:238], v[205:206]
	v_mul_f64 v[219:220], v[12:13], s[24:25]
	v_fma_f64 v[237:238], v[157:158], s[8:9], v[213:214]
	v_add_f64 v[215:216], v[233:234], v[215:216]
	v_fma_f64 v[217:218], v[143:144], s[20:21], -v[217:218]
	v_add_f64 v[209:210], v[223:224], v[209:210]
	v_add_f64 v[201:202], v[225:226], v[2:3]
	v_fma_f64 v[2:3], v[169:170], s[34:35], v[207:208]
	v_mul_f64 v[235:236], v[189:190], s[40:41]
	v_fma_f64 v[239:240], v[191:192], s[20:21], -v[231:232]
	v_fma_f64 v[227:228], v[137:138], s[16:17], v[219:220]
	v_add_f64 v[215:216], v[237:238], v[215:216]
	v_add_f64 v[203:204], v[10:11], v[203:204]
	v_fma_f64 v[10:11], v[157:158], s[8:9], -v[213:214]
	v_mul_f64 v[213:214], v[199:200], s[44:45]
	v_add_f64 v[209:210], v[217:218], v[209:210]
	v_fma_f64 v[8:9], v[167:168], s[26:27], v[8:9]
	v_add_f64 v[2:3], v[64:65], v[2:3]
	v_mul_f64 v[233:234], v[185:186], s[24:25]
	v_fma_f64 v[241:242], v[187:188], s[8:9], -v[235:236]
	v_add_f64 v[205:206], v[239:240], v[205:206]
	v_add_f64 v[207:208], v[227:228], v[215:216]
	v_mul_f64 v[215:216], v[100:101], s[44:45]
	v_fma_f64 v[217:218], v[137:138], s[16:17], -v[219:220]
	v_mul_f64 v[219:220], v[197:198], s[40:41]
	v_fma_f64 v[223:224], v[153:154], s[22:23], v[213:214]
	v_add_f64 v[10:11], v[10:11], v[209:210]
	v_fma_f64 v[209:210], v[165:166], s[14:15], v[211:212]
	v_add_f64 v[2:3], v[8:9], v[2:3]
	v_fma_f64 v[237:238], v[183:184], s[16:17], -v[233:234]
	v_add_f64 v[205:206], v[241:242], v[205:206]
	v_mul_f64 v[225:226], v[102:103], s[40:41]
	v_fma_f64 v[211:212], v[169:170], s[22:23], -v[215:216]
	v_mul_f64 v[8:9], v[163:164], s[28:29]
	v_fma_f64 v[227:228], v[149:150], s[8:9], v[219:220]
	v_add_f64 v[223:224], v[66:67], v[223:224]
	v_fma_f64 v[221:222], v[177:178], s[30:31], v[221:222]
	v_add_f64 v[2:3], v[209:210], v[2:3]
	v_add_f64 v[205:206], v[237:238], v[205:206]
	v_mul_f64 v[237:238], v[175:176], s[28:29]
	v_fma_f64 v[239:240], v[167:168], s[8:9], -v[225:226]
	v_add_f64 v[211:212], v[64:65], v[211:212]
	v_mul_f64 v[241:242], v[161:162], s[18:19]
	v_fma_f64 v[209:210], v[151:152], s[26:27], v[8:9]
	v_add_f64 v[223:224], v[227:228], v[223:224]
	v_fma_f64 v[227:228], v[193:194], s[22:23], v[229:230]
	v_add_f64 v[2:3], v[221:222], v[2:3]
	v_mul_f64 v[229:230], v[155:156], s[18:19]
	v_fma_f64 v[243:244], v[165:166], s[26:27], -v[237:238]
	v_add_f64 v[211:212], v[239:240], v[211:212]
	v_mul_f64 v[221:222], v[159:160], s[56:57]
	v_fma_f64 v[239:240], v[147:148], s[14:15], v[241:242]
	v_add_f64 v[209:210], v[209:210], v[223:224]
	v_fma_f64 v[223:224], v[191:192], s[20:21], v[231:232]
	v_add_f64 v[2:3], v[227:228], v[2:3]
	v_fma_f64 v[245:246], v[177:178], s[14:15], -v[229:230]
	v_mul_f64 v[227:228], v[139:140], s[52:53]
	v_add_f64 v[211:212], v[243:244], v[211:212]
	v_fma_f64 v[243:244], v[145:146], s[16:17], v[221:222]
	v_fma_f64 v[235:236], v[187:188], s[8:9], v[235:236]
	v_add_f64 v[209:210], v[239:240], v[209:210]
	v_fma_f64 v[233:234], v[183:184], s[16:17], v[233:234]
	v_add_f64 v[2:3], v[223:224], v[2:3]
	v_fma_f64 v[213:214], v[153:154], s[22:23], -v[213:214]
	v_fma_f64 v[8:9], v[151:152], s[26:27], -v[8:9]
	v_add_f64 v[211:212], v[245:246], v[211:212]
	v_fma_f64 v[245:246], v[143:144], s[30:31], v[227:228]
	v_mul_f64 v[231:232], v[14:15], s[56:57]
	v_add_f64 v[209:210], v[243:244], v[209:210]
	v_fma_f64 v[221:222], v[145:146], s[16:17], -v[221:222]
	v_add_f64 v[2:3], v[235:236], v[2:3]
	v_add_f64 v[213:214], v[66:67], v[213:214]
	v_mul_f64 v[239:240], v[195:196], s[52:53]
	v_mul_f64 v[223:224], v[141:142], s[42:43]
	v_mul_f64 v[235:236], v[12:13], s[38:39]
	v_fma_f64 v[247:248], v[193:194], s[16:17], -v[231:232]
	v_add_f64 v[245:246], v[245:246], v[209:210]
	v_fma_f64 v[215:216], v[169:170], s[22:23], v[215:216]
	v_add_f64 v[209:210], v[233:234], v[2:3]
	v_fma_f64 v[2:3], v[149:150], s[8:9], -v[219:220]
	v_fma_f64 v[249:250], v[191:192], s[30:31], -v[239:240]
	v_mul_f64 v[199:200], v[199:200], s[36:37]
	v_fma_f64 v[225:226], v[167:168], s[8:9], v[225:226]
	v_add_f64 v[211:212], v[247:248], v[211:212]
	v_fma_f64 v[247:248], v[157:158], s[34:35], v[223:224]
	v_fma_f64 v[223:224], v[157:158], s[34:35], -v[223:224]
	v_add_f64 v[215:216], v[64:65], v[215:216]
	v_add_f64 v[2:3], v[2:3], v[213:214]
	v_fma_f64 v[213:214], v[143:144], s[30:31], -v[227:228]
	v_fma_f64 v[227:228], v[147:148], s[14:15], -v[241:242]
	v_mul_f64 v[197:198], v[197:198], s[44:45]
	v_add_f64 v[249:250], v[249:250], v[211:212]
	v_add_f64 v[211:212], v[217:218], v[10:11]
	v_fma_f64 v[10:11], v[137:138], s[20:21], v[235:236]
	v_fma_f64 v[235:236], v[137:138], s[20:21], -v[235:236]
	v_add_f64 v[2:3], v[8:9], v[2:3]
	v_fma_f64 v[241:242], v[153:154], s[20:21], v[199:200]
	v_fma_f64 v[8:9], v[165:166], s[26:27], v[237:238]
	v_add_f64 v[215:216], v[225:226], v[215:216]
	v_mul_f64 v[163:164], v[163:164], s[48:49]
	v_fma_f64 v[225:226], v[149:150], s[22:23], v[197:198]
	v_mul_f64 v[243:244], v[189:190], s[42:43]
	v_fma_f64 v[159:160], v[191:192], s[30:31], v[239:240]
	v_add_f64 v[2:3], v[227:228], v[2:3]
	v_add_f64 v[237:238], v[66:67], v[241:242]
	v_fma_f64 v[227:228], v[177:178], s[14:15], v[229:230]
	v_add_f64 v[8:9], v[8:9], v[215:216]
	v_fma_f64 v[74:75], v[151:152], s[34:35], v[163:164]
	v_fma_f64 v[215:216], v[193:194], s[16:17], v[231:232]
	;; [unrolled: 1-line block ×3, first 2 shown]
	v_fma_f64 v[153:154], v[153:154], s[20:21], -v[199:200]
	v_add_f64 v[2:3], v[221:222], v[2:3]
	v_add_f64 v[161:162], v[225:226], v[237:238]
	v_fma_f64 v[149:150], v[149:150], s[22:23], -v[197:198]
	v_add_f64 v[8:9], v[227:228], v[8:9]
	v_mul_f64 v[139:140], v[14:15], s[10:11]
	v_fma_f64 v[253:254], v[187:188], s[34:35], -v[243:244]
	v_add_f64 v[217:218], v[247:248], v[245:246]
	v_add_f64 v[66:67], v[66:67], v[153:154]
	;; [unrolled: 1-line block ×4, first 2 shown]
	v_fma_f64 v[219:220], v[183:184], s[20:21], -v[251:252]
	v_add_f64 v[8:9], v[215:216], v[8:9]
	v_add_f64 v[233:234], v[253:254], v[249:250]
	;; [unrolled: 1-line block ×5, first 2 shown]
	v_fma_f64 v[82:83], v[187:188], s[34:35], v[243:244]
	v_add_f64 v[8:9], v[159:160], v[8:9]
	v_add_f64 v[68:69], v[235:236], v[2:3]
	;; [unrolled: 1-line block ×5, first 2 shown]
	v_mul_f64 v[8:9], v[12:13], s[18:19]
	v_add_f64 v[74:75], v[86:87], v[74:75]
	v_mul_f64 v[92:93], v[189:190], s[24:25]
	v_mul_f64 v[90:91], v[185:186], s[18:19]
	v_fma_f64 v[86:87], v[183:184], s[20:21], v[251:252]
	v_add_f64 v[2:3], v[2:3], v[98:99]
	v_add_f64 v[70:71], v[70:71], v[96:97]
	v_mul_f64 v[96:97], v[100:101], s[36:37]
	v_mul_f64 v[98:99], v[195:196], s[28:29]
	v_add_f64 v[74:75], v[141:142], v[74:75]
	v_mul_f64 v[141:142], v[155:156], s[40:41]
	v_mul_f64 v[155:156], v[102:103], s[44:45]
	v_fma_f64 v[88:89], v[157:158], s[16:17], v[94:95]
	v_add_f64 v[2:3], v[2:3], v[78:79]
	v_add_f64 v[70:71], v[70:71], v[76:77]
	v_fma_f64 v[76:77], v[169:170], s[20:21], v[96:97]
	v_fma_f64 v[96:97], v[169:170], s[20:21], -v[96:97]
	v_mul_f64 v[78:79], v[175:176], s[48:49]
	v_fma_f64 v[153:154], v[167:168], s[22:23], v[155:156]
	v_add_f64 v[2:3], v[2:3], v[30:31]
	v_add_f64 v[28:29], v[70:71], v[28:29]
	;; [unrolled: 1-line block ×3, first 2 shown]
	v_fma_f64 v[70:71], v[167:168], s[22:23], -v[155:156]
	v_add_f64 v[64:65], v[64:65], v[96:97]
	v_fma_f64 v[76:77], v[151:152], s[34:35], -v[163:164]
	v_fma_f64 v[96:97], v[165:166], s[34:35], v[78:79]
	v_add_f64 v[2:3], v[2:3], v[26:27]
	v_add_f64 v[24:25], v[28:29], v[24:25]
	v_add_f64 v[26:27], v[153:154], v[30:31]
	v_fma_f64 v[28:29], v[165:166], s[34:35], -v[78:79]
	v_add_f64 v[30:31], v[70:71], v[64:65]
	v_fma_f64 v[64:65], v[147:148], s[8:9], -v[72:73]
	v_add_f64 v[66:67], v[76:77], v[66:67]
	v_fma_f64 v[70:71], v[177:178], s[8:9], v[141:142]
	v_add_f64 v[2:3], v[2:3], v[22:23]
	v_add_f64 v[20:21], v[24:25], v[20:21]
	v_add_f64 v[22:23], v[96:97], v[26:27]
	v_fma_f64 v[24:25], v[177:178], s[8:9], -v[141:142]
	v_add_f64 v[26:27], v[28:29], v[30:31]
	v_fma_f64 v[28:29], v[145:146], s[30:31], -v[80:81]
	v_add_f64 v[30:31], v[64:65], v[66:67]
	;; [unrolled: 8-line block ×3, first 2 shown]
	v_fma_f64 v[28:29], v[191:192], s[26:27], v[98:99]
	v_add_f64 v[2:3], v[2:3], v[6:7]
	v_add_f64 v[12:13], v[16:17], v[4:5]
	buffer_load_dword v4, off, s[60:63], 0 offset:64 ; 4-byte Folded Reload
	buffer_load_dword v5, off, s[60:63], 0 offset:68 ; 4-byte Folded Reload
	;; [unrolled: 1-line block ×4, first 2 shown]
	v_add_f64 v[14:15], v[64:65], v[18:19]
	v_fma_f64 v[16:17], v[191:192], s[26:27], -v[98:99]
	v_add_f64 v[18:19], v[20:21], v[22:23]
	v_fma_f64 v[20:21], v[157:158], s[16:17], -v[94:95]
	v_add_f64 v[22:23], v[24:25], v[26:27]
	v_fma_f64 v[24:25], v[187:188], s[16:17], v[92:93]
	v_fma_f64 v[26:27], v[137:138], s[14:15], v[8:9]
	v_add_f64 v[66:67], v[86:87], v[82:83]
	v_fma_f64 v[30:31], v[183:184], s[14:15], -v[90:91]
	s_waitcnt vmcnt(0)
	v_add_f64 v[2:3], v[2:3], v[6:7]
	v_add_f64 v[4:5], v[12:13], v[4:5]
	;; [unrolled: 1-line block ×4, first 2 shown]
	v_fma_f64 v[16:17], v[137:138], s[14:15], -v[8:9]
	v_add_f64 v[18:19], v[20:21], v[22:23]
	v_fma_f64 v[20:21], v[183:184], s[14:15], v[90:91]
	v_fma_f64 v[12:13], v[187:188], s[16:17], -v[92:93]
	v_add_f64 v[2:3], v[2:3], v[173:174]
	v_add_f64 v[22:23], v[4:5], v[171:172]
	;; [unrolled: 1-line block ×5, first 2 shown]
	buffer_load_dword v18, off, s[60:63], 0 offset:8 ; 4-byte Folded Reload
	buffer_load_dword v19, off, s[60:63], 0 offset:60 ; 4-byte Folded Reload
	v_add_f64 v[14:15], v[12:13], v[14:15]
	v_add_f64 v[8:9], v[2:3], v[34:35]
	;; [unrolled: 1-line block ×8, first 2 shown]
	s_waitcnt vmcnt(0)
	v_lshl_add_u32 v18, v19, 4, v18
	ds_write_b128 v18, v[6:9]
	ds_write_b128 v18, v[2:5] offset:16
	ds_write_b128 v18, v[66:69] offset:32
	;; [unrolled: 1-line block ×8, first 2 shown]
	buffer_load_dword v2, off, s[60:63], 0 offset:80 ; 4-byte Folded Reload
	buffer_load_dword v3, off, s[60:63], 0 offset:84 ; 4-byte Folded Reload
	;; [unrolled: 1-line block ×4, first 2 shown]
	s_waitcnt vmcnt(0)
	ds_write_b128 v18, v[2:5] offset:144
	ds_write_b128 v18, v[104:107] offset:160
	;; [unrolled: 1-line block ×8, first 2 shown]
.LBB0_13:
	s_or_b64 exec, exec, s[4:5]
	s_waitcnt lgkmcnt(0)
	s_barrier
	ds_read_b128 v[2:5], v1
	ds_read_b128 v[6:9], v1 offset:272
	ds_read_b128 v[10:13], v1 offset:544
	;; [unrolled: 1-line block ×8, first 2 shown]
	s_waitcnt lgkmcnt(7)
	v_mul_f64 v[30:31], v[46:47], v[8:9]
	s_waitcnt lgkmcnt(5)
	v_mul_f64 v[74:75], v[38:39], v[16:17]
	v_mul_f64 v[38:39], v[38:39], v[14:15]
	;; [unrolled: 1-line block ×5, first 2 shown]
	s_waitcnt lgkmcnt(4)
	v_mul_f64 v[34:35], v[181:182], v[18:19]
	s_waitcnt lgkmcnt(1)
	v_mul_f64 v[32:33], v[58:59], v[64:65]
	v_fma_f64 v[6:7], v[44:45], v[6:7], v[30:31]
	v_mul_f64 v[30:31], v[181:182], v[20:21]
	v_fma_f64 v[16:17], v[36:37], v[16:17], -v[38:39]
	s_waitcnt lgkmcnt(0)
	v_mul_f64 v[38:39], v[62:63], v[68:69]
	v_fma_f64 v[8:9], v[44:45], v[8:9], -v[46:47]
	v_fma_f64 v[10:11], v[40:41], v[10:11], v[72:73]
	v_fma_f64 v[12:13], v[40:41], v[12:13], -v[42:43]
	v_fma_f64 v[14:15], v[36:37], v[14:15], v[74:75]
	v_mul_f64 v[36:37], v[62:63], v[70:71]
	v_mul_f64 v[40:41], v[54:55], v[22:23]
	v_fma_f64 v[18:19], v[179:180], v[18:19], v[30:31]
	v_fma_f64 v[38:39], v[60:61], v[70:71], -v[38:39]
	v_fma_f64 v[20:21], v[179:180], v[20:21], -v[34:35]
	v_mul_f64 v[30:31], v[58:59], v[66:67]
	v_mul_f64 v[34:35], v[54:55], v[24:25]
	;; [unrolled: 1-line block ×3, first 2 shown]
	v_fma_f64 v[36:37], v[60:61], v[68:69], v[36:37]
	v_mul_f64 v[44:45], v[50:51], v[26:27]
	v_fma_f64 v[32:33], v[56:57], v[66:67], -v[32:33]
	v_fma_f64 v[24:25], v[52:53], v[24:25], -v[40:41]
	v_add_f64 v[40:41], v[8:9], -v[38:39]
	s_mov_b32 s9, 0x3fe491b7
	s_mov_b32 s8, 0x523c161c
	v_fma_f64 v[30:31], v[56:57], v[64:65], v[30:31]
	v_fma_f64 v[22:23], v[52:53], v[22:23], v[34:35]
	v_add_f64 v[34:35], v[6:7], -v[36:37]
	v_fma_f64 v[26:27], v[48:49], v[26:27], v[42:43]
	v_fma_f64 v[28:29], v[48:49], v[28:29], -v[44:45]
	v_add_f64 v[44:45], v[12:13], -v[32:33]
	v_mul_f64 v[48:49], v[40:41], s[8:9]
	v_add_f64 v[36:37], v[6:7], v[36:37]
	s_mov_b32 s10, 0x8c811c17
	s_mov_b32 s14, 0xa2cf5039
	;; [unrolled: 1-line block ×4, first 2 shown]
	v_add_f64 v[42:43], v[10:11], -v[30:31]
	v_mul_f64 v[46:47], v[34:35], s[8:9]
	v_add_f64 v[38:39], v[8:9], v[38:39]
	v_add_f64 v[52:53], v[16:17], -v[28:29]
	v_fma_f64 v[8:9], v[44:45], s[10:11], v[48:49]
	v_add_f64 v[30:31], v[10:11], v[30:31]
	v_fma_f64 v[10:11], v[36:37], s[14:15], v[2:3]
	s_mov_b32 s4, 0xe8584cab
	s_mov_b32 s16, 0x7e0b738b
	;; [unrolled: 1-line block ×4, first 2 shown]
	v_add_f64 v[50:51], v[14:15], -v[26:27]
	v_fma_f64 v[6:7], v[42:43], s[10:11], v[46:47]
	v_add_f64 v[12:13], v[12:13], v[32:33]
	v_add_f64 v[26:27], v[14:15], v[26:27]
	v_fma_f64 v[8:9], v[52:53], s[4:5], v[8:9]
	v_fma_f64 v[14:15], v[38:39], s[14:15], v[4:5]
	v_add_f64 v[32:33], v[18:19], -v[22:23]
	v_add_f64 v[46:47], v[20:21], -v[24:25]
	v_add_f64 v[48:49], v[18:19], v[22:23]
	v_add_f64 v[54:55], v[20:21], v[24:25]
	v_fma_f64 v[10:11], v[30:31], s[16:17], v[10:11]
	s_mov_b32 s18, 0x748a0bf8
	s_mov_b32 s9, 0xbfe491b7
	;; [unrolled: 1-line block ×3, first 2 shown]
	v_add_f64 v[28:29], v[16:17], v[28:29]
	v_fma_f64 v[14:15], v[12:13], s[16:17], v[14:15]
	v_mul_f64 v[16:17], v[32:33], s[8:9]
	v_mul_f64 v[56:57], v[46:47], s[8:9]
	v_fma_f64 v[58:59], v[48:49], s[14:15], v[2:3]
	v_fma_f64 v[60:61], v[54:55], s[14:15], v[4:5]
	;; [unrolled: 1-line block ×3, first 2 shown]
	v_fma_f64 v[8:9], v[26:27], -0.5, v[10:11]
	s_mov_b32 s22, 0x42522d1b
	s_mov_b32 s23, 0xbfee11f6
	v_fma_f64 v[6:7], v[50:51], s[4:5], v[6:7]
	v_fma_f64 v[10:11], v[28:29], -0.5, v[14:15]
	v_fma_f64 v[14:15], v[34:35], s[10:11], v[16:17]
	v_fma_f64 v[16:17], v[40:41], s[10:11], v[56:57]
	;; [unrolled: 1-line block ×5, first 2 shown]
	s_mov_b32 s21, 0xbfebb67a
	s_mov_b32 s20, s4
	v_fma_f64 v[60:61], v[32:33], s[18:19], v[6:7]
	v_fma_f64 v[14:15], v[50:51], s[20:21], v[14:15]
	;; [unrolled: 1-line block ×3, first 2 shown]
	v_fma_f64 v[56:57], v[26:27], -0.5, v[56:57]
	v_fma_f64 v[58:59], v[28:29], -0.5, v[58:59]
	v_fma_f64 v[10:11], v[54:55], s[22:23], v[10:11]
	v_add_f64 v[6:7], v[8:9], -v[62:63]
	v_fma_f64 v[68:69], v[12:13], s[14:15], v[4:5]
	v_add_f64 v[70:71], v[2:3], v[26:27]
	v_fma_f64 v[64:65], v[42:43], s[18:19], v[14:15]
	v_fma_f64 v[66:67], v[44:45], s[18:19], v[16:17]
	;; [unrolled: 1-line block ×4, first 2 shown]
	v_add_f64 v[56:57], v[32:33], v[34:35]
	v_add_f64 v[8:9], v[60:61], v[10:11]
	v_fma_f64 v[10:11], v[62:63], 2.0, v[6:7]
	v_add_f64 v[58:59], v[46:47], v[40:41]
	v_mul_f64 v[32:33], v[32:33], s[10:11]
	v_mul_f64 v[46:47], v[46:47], s[10:11]
	v_fma_f64 v[62:63], v[30:31], s[14:15], v[2:3]
	v_add_f64 v[30:31], v[30:31], v[36:37]
	v_add_f64 v[12:13], v[12:13], v[38:39]
	v_add_f64 v[56:57], v[56:57], -v[42:43]
	v_add_f64 v[14:15], v[14:15], -v[66:67]
	;; [unrolled: 1-line block ×3, first 2 shown]
	v_fma_f64 v[32:33], v[42:43], s[8:9], -v[32:33]
	v_fma_f64 v[42:43], v[44:45], s[8:9], -v[46:47]
	v_fma_f64 v[44:45], v[48:49], s[16:17], v[62:63]
	v_fma_f64 v[46:47], v[54:55], s[16:17], v[68:69]
	v_add_f64 v[68:69], v[26:27], v[30:31]
	v_add_f64 v[72:73], v[28:29], v[12:13]
	;; [unrolled: 1-line block ×4, first 2 shown]
	v_fma_f64 v[32:33], v[50:51], s[4:5], v[32:33]
	v_fma_f64 v[42:43], v[52:53], s[4:5], v[42:43]
	v_fma_f64 v[26:27], v[26:27], -0.5, v[44:45]
	v_fma_f64 v[28:29], v[28:29], -0.5, v[46:47]
	v_add_f64 v[12:13], v[54:55], v[12:13]
	v_add_f64 v[18:19], v[18:19], v[68:69]
	;; [unrolled: 1-line block ×3, first 2 shown]
	v_fma_f64 v[30:31], v[30:31], -0.5, v[70:71]
	v_fma_f64 v[32:33], v[34:35], s[18:19], v[32:33]
	v_fma_f64 v[34:35], v[40:41], s[18:19], v[42:43]
	;; [unrolled: 1-line block ×4, first 2 shown]
	v_fma_f64 v[12:13], v[12:13], -0.5, v[62:63]
	v_add_f64 v[36:37], v[22:23], v[18:19]
	v_add_f64 v[38:39], v[24:25], v[20:21]
	v_mul_f64 v[40:41], v[56:57], s[4:5]
	v_mul_f64 v[42:43], v[58:59], s[4:5]
	v_fma_f64 v[18:19], v[58:59], s[20:21], v[30:31]
	v_add_f64 v[22:23], v[26:27], -v[34:35]
	v_add_f64 v[24:25], v[32:33], v[28:29]
	v_fma_f64 v[20:21], v[56:57], s[4:5], v[12:13]
	v_add_f64 v[16:17], v[64:65], v[16:17]
	v_add_f64 v[1:2], v[2:3], v[36:37]
	v_add_f64 v[3:4], v[4:5], v[38:39]
	v_fma_f64 v[26:27], v[66:67], 2.0, v[14:15]
	v_fma_f64 v[30:31], v[42:43], 2.0, v[18:19]
	;; [unrolled: 1-line block ×3, first 2 shown]
	v_fma_f64 v[36:37], v[32:33], -2.0, v[24:25]
	v_fma_f64 v[32:33], v[40:41], -2.0, v[20:21]
	;; [unrolled: 1-line block ×4, first 2 shown]
	ds_write_b128 v0, v[1:4]
	ds_write_b128 v0, v[6:9] offset:272
	ds_write_b128 v0, v[14:17] offset:544
	;; [unrolled: 1-line block ×8, first 2 shown]
	s_waitcnt lgkmcnt(0)
	s_barrier
	s_and_b64 exec, exec, vcc
	s_cbranch_execz .LBB0_15
; %bb.14:
	buffer_load_dword v22, off, s[60:63], 0 ; 4-byte Folded Reload
	buffer_load_dword v2, off, s[60:63], 0 offset:4 ; 4-byte Folded Reload
	global_load_dwordx4 v[3:6], v255, s[6:7]
	ds_read_b128 v[7:10], v0
	v_mad_u64_u32 v[15:16], s[4:5], s2, v136, 0
	s_mul_hi_u32 s8, s0, 0x90
	s_waitcnt vmcnt(1)
	v_lshl_add_u32 v2, v2, 4, v255
	ds_read_b128 v[11:14], v2 offset:144
	s_waitcnt vmcnt(0) lgkmcnt(1)
	v_mul_f64 v[17:18], v[9:10], v[5:6]
	v_mul_f64 v[5:6], v[7:8], v[5:6]
	v_mad_u64_u32 v[0:1], s[4:5], s0, v22, 0
	s_mul_i32 s5, s1, 0x90
	s_mul_i32 s4, s0, 0x90
	s_add_i32 s5, s8, s5
	v_fma_f64 v[7:8], v[7:8], v[3:4], v[17:18]
	v_fma_f64 v[5:6], v[3:4], v[9:10], -v[5:6]
	v_mad_u64_u32 v[19:20], s[2:3], s3, v136, v[16:17]
	v_mad_u64_u32 v[20:21], s[2:3], s1, v22, v[1:2]
	s_mov_b32 s2, 0x1ac5701b
	s_mov_b32 s3, 0x3f7ac570
	v_mul_f64 v[3:4], v[7:8], s[2:3]
	v_mul_f64 v[5:6], v[5:6], s[2:3]
	v_mov_b32_e32 v16, v19
	v_lshlrev_b64 v[9:10], 4, v[15:16]
	v_mov_b32_e32 v1, v20
	v_mov_b32_e32 v17, s13
	v_lshlrev_b64 v[15:16], 4, v[0:1]
	v_add_co_u32_e32 v0, vcc, s12, v9
	v_addc_co_u32_e32 v1, vcc, v17, v10, vcc
	v_add_co_u32_e32 v7, vcc, v0, v15
	v_addc_co_u32_e32 v8, vcc, v1, v16, vcc
	global_store_dwordx4 v[7:8], v[3:6], off
	global_load_dwordx4 v[3:6], v255, s[6:7] offset:144
	v_add_co_u32_e32 v15, vcc, s4, v7
	s_waitcnt vmcnt(0) lgkmcnt(0)
	v_mul_f64 v[9:10], v[13:14], v[5:6]
	v_mul_f64 v[5:6], v[11:12], v[5:6]
	v_fma_f64 v[9:10], v[11:12], v[3:4], v[9:10]
	v_fma_f64 v[5:6], v[3:4], v[13:14], -v[5:6]
	v_mul_f64 v[3:4], v[9:10], s[2:3]
	v_mul_f64 v[5:6], v[5:6], s[2:3]
	v_mov_b32_e32 v9, s5
	v_addc_co_u32_e32 v16, vcc, v8, v9, vcc
	global_store_dwordx4 v[15:16], v[3:6], off
	global_load_dwordx4 v[3:6], v255, s[6:7] offset:288
	ds_read_b128 v[7:10], v2 offset:288
	ds_read_b128 v[11:14], v2 offset:432
	s_waitcnt vmcnt(0) lgkmcnt(1)
	v_mul_f64 v[17:18], v[9:10], v[5:6]
	v_mul_f64 v[5:6], v[7:8], v[5:6]
	v_fma_f64 v[7:8], v[7:8], v[3:4], v[17:18]
	v_fma_f64 v[5:6], v[3:4], v[9:10], -v[5:6]
	v_mul_f64 v[3:4], v[7:8], s[2:3]
	v_mul_f64 v[5:6], v[5:6], s[2:3]
	v_mov_b32_e32 v8, s5
	v_add_co_u32_e32 v7, vcc, s4, v15
	v_addc_co_u32_e32 v8, vcc, v16, v8, vcc
	v_add_co_u32_e32 v15, vcc, s4, v7
	global_store_dwordx4 v[7:8], v[3:6], off
	global_load_dwordx4 v[3:6], v255, s[6:7] offset:432
	s_waitcnt vmcnt(0) lgkmcnt(0)
	v_mul_f64 v[9:10], v[13:14], v[5:6]
	v_mul_f64 v[5:6], v[11:12], v[5:6]
	v_fma_f64 v[9:10], v[11:12], v[3:4], v[9:10]
	v_fma_f64 v[5:6], v[3:4], v[13:14], -v[5:6]
	v_mul_f64 v[3:4], v[9:10], s[2:3]
	v_mul_f64 v[5:6], v[5:6], s[2:3]
	v_mov_b32_e32 v9, s5
	v_addc_co_u32_e32 v16, vcc, v8, v9, vcc
	global_store_dwordx4 v[15:16], v[3:6], off
	global_load_dwordx4 v[3:6], v255, s[6:7] offset:576
	ds_read_b128 v[7:10], v2 offset:576
	ds_read_b128 v[11:14], v2 offset:720
	s_waitcnt vmcnt(0) lgkmcnt(1)
	v_mul_f64 v[17:18], v[9:10], v[5:6]
	v_mul_f64 v[5:6], v[7:8], v[5:6]
	v_fma_f64 v[7:8], v[7:8], v[3:4], v[17:18]
	v_fma_f64 v[5:6], v[3:4], v[9:10], -v[5:6]
	v_mul_f64 v[3:4], v[7:8], s[2:3]
	v_mul_f64 v[5:6], v[5:6], s[2:3]
	v_mov_b32_e32 v8, s5
	v_add_co_u32_e32 v7, vcc, s4, v15
	v_addc_co_u32_e32 v8, vcc, v16, v8, vcc
	v_add_co_u32_e32 v15, vcc, s4, v7
	global_store_dwordx4 v[7:8], v[3:6], off
	global_load_dwordx4 v[3:6], v255, s[6:7] offset:720
	;; [unrolled: 26-line block ×6, first 2 shown]
	s_waitcnt vmcnt(0) lgkmcnt(0)
	v_mul_f64 v[9:10], v[13:14], v[5:6]
	v_mul_f64 v[5:6], v[11:12], v[5:6]
	v_fma_f64 v[9:10], v[11:12], v[3:4], v[9:10]
	v_fma_f64 v[5:6], v[3:4], v[13:14], -v[5:6]
	v_mul_f64 v[3:4], v[9:10], s[2:3]
	v_mul_f64 v[5:6], v[5:6], s[2:3]
	v_mov_b32_e32 v9, s5
	v_addc_co_u32_e32 v16, vcc, v8, v9, vcc
	global_store_dwordx4 v[15:16], v[3:6], off
	global_load_dwordx4 v[3:6], v255, s[6:7] offset:2016
	ds_read_b128 v[7:10], v2 offset:2016
	ds_read_b128 v[11:14], v2 offset:2160
	s_waitcnt vmcnt(0) lgkmcnt(1)
	v_mul_f64 v[17:18], v[9:10], v[5:6]
	v_mul_f64 v[5:6], v[7:8], v[5:6]
	v_fma_f64 v[7:8], v[7:8], v[3:4], v[17:18]
	v_fma_f64 v[5:6], v[3:4], v[9:10], -v[5:6]
	v_mul_f64 v[3:4], v[7:8], s[2:3]
	v_mul_f64 v[5:6], v[5:6], s[2:3]
	v_mov_b32_e32 v8, s5
	v_add_co_u32_e32 v7, vcc, s4, v15
	v_addc_co_u32_e32 v8, vcc, v16, v8, vcc
	global_store_dwordx4 v[7:8], v[3:6], off
	global_load_dwordx4 v[3:6], v255, s[6:7] offset:2160
	v_add_co_u32_e32 v7, vcc, s4, v7
	s_waitcnt vmcnt(0) lgkmcnt(0)
	v_mul_f64 v[9:10], v[13:14], v[5:6]
	v_mul_f64 v[5:6], v[11:12], v[5:6]
	v_fma_f64 v[9:10], v[11:12], v[3:4], v[9:10]
	v_fma_f64 v[5:6], v[3:4], v[13:14], -v[5:6]
	v_or_b32_e32 v13, 0x90, v22
	v_mul_f64 v[3:4], v[9:10], s[2:3]
	v_mul_f64 v[5:6], v[5:6], s[2:3]
	v_mov_b32_e32 v9, s5
	v_addc_co_u32_e32 v8, vcc, v8, v9, vcc
	global_store_dwordx4 v[7:8], v[3:6], off
	global_load_dwordx4 v[3:6], v255, s[6:7] offset:2304
	ds_read_b128 v[7:10], v2 offset:2304
	s_waitcnt vmcnt(0) lgkmcnt(0)
	v_mul_f64 v[11:12], v[9:10], v[5:6]
	v_mul_f64 v[5:6], v[7:8], v[5:6]
	v_fma_f64 v[7:8], v[7:8], v[3:4], v[11:12]
	v_fma_f64 v[4:5], v[3:4], v[9:10], -v[5:6]
	v_mad_u64_u32 v[9:10], s[4:5], s0, v13, 0
	v_mov_b32_e32 v2, v10
	v_mad_u64_u32 v[10:11], s[0:1], s1, v13, v[2:3]
	v_mul_f64 v[2:3], v[7:8], s[2:3]
	v_mul_f64 v[4:5], v[4:5], s[2:3]
	v_lshlrev_b64 v[6:7], 4, v[9:10]
	v_add_co_u32_e32 v0, vcc, v0, v6
	v_addc_co_u32_e32 v1, vcc, v1, v7, vcc
	global_store_dwordx4 v[0:1], v[2:5], off
.LBB0_15:
	s_endpgm
	.section	.rodata,"a",@progbits
	.p2align	6, 0x0
	.amdhsa_kernel bluestein_single_back_len153_dim1_dp_op_CI_CI
		.amdhsa_group_segment_fixed_size 17136
		.amdhsa_private_segment_fixed_size 596
		.amdhsa_kernarg_size 104
		.amdhsa_user_sgpr_count 6
		.amdhsa_user_sgpr_private_segment_buffer 1
		.amdhsa_user_sgpr_dispatch_ptr 0
		.amdhsa_user_sgpr_queue_ptr 0
		.amdhsa_user_sgpr_kernarg_segment_ptr 1
		.amdhsa_user_sgpr_dispatch_id 0
		.amdhsa_user_sgpr_flat_scratch_init 0
		.amdhsa_user_sgpr_private_segment_size 0
		.amdhsa_uses_dynamic_stack 0
		.amdhsa_system_sgpr_private_segment_wavefront_offset 1
		.amdhsa_system_sgpr_workgroup_id_x 1
		.amdhsa_system_sgpr_workgroup_id_y 0
		.amdhsa_system_sgpr_workgroup_id_z 0
		.amdhsa_system_sgpr_workgroup_info 0
		.amdhsa_system_vgpr_workitem_id 0
		.amdhsa_next_free_vgpr 256
		.amdhsa_next_free_sgpr 64
		.amdhsa_reserve_vcc 1
		.amdhsa_reserve_flat_scratch 0
		.amdhsa_float_round_mode_32 0
		.amdhsa_float_round_mode_16_64 0
		.amdhsa_float_denorm_mode_32 3
		.amdhsa_float_denorm_mode_16_64 3
		.amdhsa_dx10_clamp 1
		.amdhsa_ieee_mode 1
		.amdhsa_fp16_overflow 0
		.amdhsa_exception_fp_ieee_invalid_op 0
		.amdhsa_exception_fp_denorm_src 0
		.amdhsa_exception_fp_ieee_div_zero 0
		.amdhsa_exception_fp_ieee_overflow 0
		.amdhsa_exception_fp_ieee_underflow 0
		.amdhsa_exception_fp_ieee_inexact 0
		.amdhsa_exception_int_div_zero 0
	.end_amdhsa_kernel
	.text
.Lfunc_end0:
	.size	bluestein_single_back_len153_dim1_dp_op_CI_CI, .Lfunc_end0-bluestein_single_back_len153_dim1_dp_op_CI_CI
                                        ; -- End function
	.section	.AMDGPU.csdata,"",@progbits
; Kernel info:
; codeLenInByte = 24284
; NumSgprs: 68
; NumVgprs: 256
; ScratchSize: 596
; MemoryBound: 0
; FloatMode: 240
; IeeeMode: 1
; LDSByteSize: 17136 bytes/workgroup (compile time only)
; SGPRBlocks: 8
; VGPRBlocks: 63
; NumSGPRsForWavesPerEU: 68
; NumVGPRsForWavesPerEU: 256
; Occupancy: 1
; WaveLimiterHint : 1
; COMPUTE_PGM_RSRC2:SCRATCH_EN: 1
; COMPUTE_PGM_RSRC2:USER_SGPR: 6
; COMPUTE_PGM_RSRC2:TRAP_HANDLER: 0
; COMPUTE_PGM_RSRC2:TGID_X_EN: 1
; COMPUTE_PGM_RSRC2:TGID_Y_EN: 0
; COMPUTE_PGM_RSRC2:TGID_Z_EN: 0
; COMPUTE_PGM_RSRC2:TIDIG_COMP_CNT: 0
	.type	__hip_cuid_7b08fc6b6e2c8ef8,@object ; @__hip_cuid_7b08fc6b6e2c8ef8
	.section	.bss,"aw",@nobits
	.globl	__hip_cuid_7b08fc6b6e2c8ef8
__hip_cuid_7b08fc6b6e2c8ef8:
	.byte	0                               ; 0x0
	.size	__hip_cuid_7b08fc6b6e2c8ef8, 1

	.ident	"AMD clang version 19.0.0git (https://github.com/RadeonOpenCompute/llvm-project roc-6.4.0 25133 c7fe45cf4b819c5991fe208aaa96edf142730f1d)"
	.section	".note.GNU-stack","",@progbits
	.addrsig
	.addrsig_sym __hip_cuid_7b08fc6b6e2c8ef8
	.amdgpu_metadata
---
amdhsa.kernels:
  - .args:
      - .actual_access:  read_only
        .address_space:  global
        .offset:         0
        .size:           8
        .value_kind:     global_buffer
      - .actual_access:  read_only
        .address_space:  global
        .offset:         8
        .size:           8
        .value_kind:     global_buffer
      - .actual_access:  read_only
        .address_space:  global
        .offset:         16
        .size:           8
        .value_kind:     global_buffer
      - .actual_access:  read_only
        .address_space:  global
        .offset:         24
        .size:           8
        .value_kind:     global_buffer
      - .actual_access:  read_only
        .address_space:  global
        .offset:         32
        .size:           8
        .value_kind:     global_buffer
      - .offset:         40
        .size:           8
        .value_kind:     by_value
      - .address_space:  global
        .offset:         48
        .size:           8
        .value_kind:     global_buffer
      - .address_space:  global
        .offset:         56
        .size:           8
        .value_kind:     global_buffer
      - .address_space:  global
        .offset:         64
        .size:           8
        .value_kind:     global_buffer
      - .address_space:  global
        .offset:         72
        .size:           8
        .value_kind:     global_buffer
      - .offset:         80
        .size:           4
        .value_kind:     by_value
      - .address_space:  global
        .offset:         88
        .size:           8
        .value_kind:     global_buffer
      - .address_space:  global
        .offset:         96
        .size:           8
        .value_kind:     global_buffer
    .group_segment_fixed_size: 17136
    .kernarg_segment_align: 8
    .kernarg_segment_size: 104
    .language:       OpenCL C
    .language_version:
      - 2
      - 0
    .max_flat_workgroup_size: 119
    .name:           bluestein_single_back_len153_dim1_dp_op_CI_CI
    .private_segment_fixed_size: 596
    .sgpr_count:     68
    .sgpr_spill_count: 0
    .symbol:         bluestein_single_back_len153_dim1_dp_op_CI_CI.kd
    .uniform_work_group_size: 1
    .uses_dynamic_stack: false
    .vgpr_count:     256
    .vgpr_spill_count: 164
    .wavefront_size: 64
amdhsa.target:   amdgcn-amd-amdhsa--gfx906
amdhsa.version:
  - 1
  - 2
...

	.end_amdgpu_metadata
